;; amdgpu-corpus repo=ROCm/rocFFT kind=compiled arch=gfx906 opt=O3
	.text
	.amdgcn_target "amdgcn-amd-amdhsa--gfx906"
	.amdhsa_code_object_version 6
	.protected	fft_rtc_back_len64_factors_8_2_4_wgs_64_tpt_4_halfLds_dim2_dp_ip_CI_sbcc_twdbase5_3step_dirReg ; -- Begin function fft_rtc_back_len64_factors_8_2_4_wgs_64_tpt_4_halfLds_dim2_dp_ip_CI_sbcc_twdbase5_3step_dirReg
	.globl	fft_rtc_back_len64_factors_8_2_4_wgs_64_tpt_4_halfLds_dim2_dp_ip_CI_sbcc_twdbase5_3step_dirReg
	.p2align	8
	.type	fft_rtc_back_len64_factors_8_2_4_wgs_64_tpt_4_halfLds_dim2_dp_ip_CI_sbcc_twdbase5_3step_dirReg,@function
fft_rtc_back_len64_factors_8_2_4_wgs_64_tpt_4_halfLds_dim2_dp_ip_CI_sbcc_twdbase5_3step_dirReg: ; @fft_rtc_back_len64_factors_8_2_4_wgs_64_tpt_4_halfLds_dim2_dp_ip_CI_sbcc_twdbase5_3step_dirReg
; %bb.0:
	s_load_dwordx2 s[12:13], s[4:5], 0x50
	s_load_dwordx2 s[14:15], s[4:5], 0x0
	s_load_dwordx4 s[8:11], s[4:5], 0x10
	s_movk_i32 s0, 0x60
	v_cmp_gt_u32_e32 vcc, s0, v0
	s_and_saveexec_b64 s[2:3], vcc
	s_cbranch_execz .LBB0_3
; %bb.1:
	s_load_dwordx2 s[0:1], s[4:5], 0x8
	v_lshlrev_b32_e32 v5, 4, v0
	v_or_b32_e32 v1, 0xffffffc0, v0
	v_mov_b32_e32 v2, -1
	s_mov_b64 s[4:5], 0
	s_waitcnt lgkmcnt(0)
	v_mov_b32_e32 v4, s1
	v_add_co_u32_e32 v3, vcc, s0, v5
	v_add_u32_e32 v5, 0, v5
	v_addc_co_u32_e32 v4, vcc, 0, v4, vcc
	v_add_u32_e32 v5, 0x2000, v5
.LBB0_2:                                ; =>This Inner Loop Header: Depth=1
	global_load_dwordx4 v[6:9], v[3:4], off
	v_add_co_u32_e32 v1, vcc, 64, v1
	v_addc_co_u32_e32 v2, vcc, 0, v2, vcc
	v_cmp_lt_u64_e64 s[0:1], 31, v[1:2]
	v_add_co_u32_e32 v3, vcc, 0x400, v3
	v_addc_co_u32_e32 v4, vcc, 0, v4, vcc
	s_or_b64 s[4:5], s[0:1], s[4:5]
	s_waitcnt vmcnt(0)
	ds_write2_b64 v5, v[6:7], v[8:9] offset1:1
	v_add_u32_e32 v5, 0x400, v5
	s_andn2_b64 exec, exec, s[4:5]
	s_cbranch_execnz .LBB0_2
.LBB0_3:
	s_or_b64 exec, exec, s[2:3]
	s_waitcnt lgkmcnt(0)
	s_load_dwordx2 s[16:17], s[8:9], 0x8
	s_load_dwordx2 s[2:3], s[10:11], 0x0
	s_mov_b32 s7, 0
	s_mov_b64 s[8:9], -1
	s_mov_b64 s[18:19], 0
	s_waitcnt lgkmcnt(0)
	s_add_u32 s0, s16, -1
	s_addc_u32 s1, s17, -1
	s_lshr_b64 s[0:1], s[0:1], 4
	s_add_u32 s0, s0, 1
	s_addc_u32 s1, s1, 0
	v_mov_b32_e32 v2, s1
	v_mov_b32_e32 v1, s0
	v_cmp_lt_u64_e32 vcc, s[6:7], v[1:2]
	s_cbranch_vccnz .LBB0_5
; %bb.4:
	v_cvt_f32_u32_e32 v1, s0
	s_sub_i32 s4, 0, s0
	v_rcp_iflag_f32_e32 v1, v1
	v_mul_f32_e32 v1, 0x4f7ffffe, v1
	v_cvt_u32_f32_e32 v1, v1
	v_readfirstlane_b32 s5, v1
	s_mul_i32 s4, s4, s5
	s_mul_hi_u32 s4, s5, s4
	s_add_i32 s5, s5, s4
	s_mul_hi_u32 s4, s6, s5
	s_mul_i32 s7, s4, s0
	s_sub_i32 s7, s6, s7
	s_add_i32 s5, s4, 1
	s_sub_i32 s18, s7, s0
	s_cmp_ge_u32 s7, s0
	s_cselect_b32 s4, s5, s4
	s_cselect_b32 s7, s18, s7
	s_add_i32 s5, s4, 1
	s_cmp_ge_u32 s7, s0
	s_cselect_b32 s18, s5, s4
.LBB0_5:
	s_mul_i32 s1, s18, s1
	s_mul_hi_u32 s4, s18, s0
	s_add_i32 s4, s4, s1
	s_mul_i32 s0, s18, s0
	s_sub_u32 s0, s6, s0
	s_subb_u32 s1, 0, s4
	s_load_dwordx4 s[4:7], s[10:11], 0x8
	v_mov_b32_e32 v1, s0
	s_lshl_b64 s[10:11], s[0:1], 4
	v_alignbit_b32 v1, s1, v1, 28
	v_readfirstlane_b32 s0, v1
	s_waitcnt lgkmcnt(0)
	s_mul_i32 s1, s10, s5
	s_mul_hi_u32 s19, s10, s4
	s_mul_i32 s0, s0, s4
	s_add_i32 s1, s19, s1
	s_mul_i32 s7, s7, s18
	s_mul_hi_u32 s19, s6, s18
	s_add_i32 s1, s1, s0
	s_mul_i32 s0, s10, s4
	s_add_i32 s19, s19, s7
	s_mul_i32 s6, s6, s18
	s_add_u32 s6, s6, s0
	s_addc_u32 s7, s19, s1
	v_and_b32_e32 v69, 15, v0
	v_or_b32_e32 v65, s10, v69
	s_add_u32 s10, s10, 16
	v_mov_b32_e32 v1, s16
	v_mov_b32_e32 v66, s11
	s_addc_u32 s11, s11, 0
	v_mov_b32_e32 v2, s17
	v_cmp_gt_u64_e32 vcc, s[10:11], v[1:2]
	v_cmp_le_u64_e64 s[0:1], s[10:11], v[1:2]
	v_lshrrev_b32_e32 v68, 4, v0
	s_cbranch_vccz .LBB0_11
; %bb.6:
	v_cmp_le_u64_e32 vcc, s[16:17], v[65:66]
                                        ; implicit-def: $vgpr71
                                        ; implicit-def: $vgpr67
                                        ; implicit-def: $vgpr70
                                        ; implicit-def: $vgpr73
                                        ; implicit-def: $vgpr75
                                        ; implicit-def: $vgpr74
                                        ; implicit-def: $vgpr76
	s_and_saveexec_b64 s[8:9], vcc
	s_xor_b64 s[8:9], exec, s[8:9]
; %bb.7:
	v_or_b32_e32 v71, 4, v68
	v_or_b32_e32 v67, 8, v68
	;; [unrolled: 1-line block ×7, first 2 shown]
; %bb.8:
	s_or_saveexec_b64 s[8:9], s[8:9]
                                        ; implicit-def: $vgpr1_vgpr2
                                        ; implicit-def: $vgpr45_vgpr46
                                        ; implicit-def: $vgpr17_vgpr18
                                        ; implicit-def: $vgpr61_vgpr62
                                        ; implicit-def: $vgpr57_vgpr58
                                        ; implicit-def: $vgpr53_vgpr54
                                        ; implicit-def: $vgpr37_vgpr38
                                        ; implicit-def: $vgpr41_vgpr42
                                        ; implicit-def: $vgpr25_vgpr26
                                        ; implicit-def: $vgpr29_vgpr30
                                        ; implicit-def: $vgpr49_vgpr50
                                        ; implicit-def: $vgpr33_vgpr34
                                        ; implicit-def: $vgpr13_vgpr14
                                        ; implicit-def: $vgpr21_vgpr22
                                        ; implicit-def: $vgpr9_vgpr10
                                        ; implicit-def: $vgpr5_vgpr6
	s_xor_b64 exec, exec, s[8:9]
	s_cbranch_execz .LBB0_10
; %bb.9:
	v_mad_u64_u32 v[1:2], s[10:11], s4, v69, 0
	v_mad_u64_u32 v[3:4], s[10:11], s2, v68, 0
	v_or_b32_e32 v67, 8, v68
	v_or_b32_e32 v73, 16, v68
	v_mad_u64_u32 v[5:6], s[10:11], s5, v69, v[2:3]
	v_mov_b32_e32 v2, v4
	v_mad_u64_u32 v[6:7], s[10:11], s3, v68, v[2:3]
	s_lshl_b64 s[10:11], s[6:7], 4
	s_add_u32 s18, s12, s10
	s_addc_u32 s10, s13, s11
	v_mov_b32_e32 v2, v5
	v_mov_b32_e32 v4, v6
	;; [unrolled: 1-line block ×3, first 2 shown]
	v_mad_u64_u32 v[5:6], s[10:11], s2, v67, 0
	v_lshlrev_b64 v[1:2], 4, v[1:2]
	v_mad_u64_u32 v[11:12], s[10:11], s2, v73, 0
	v_add_co_u32_e32 v72, vcc, s18, v1
	v_addc_co_u32_e32 v81, vcc, v7, v2, vcc
	v_lshlrev_b64 v[1:2], 4, v[3:4]
	v_mov_b32_e32 v3, v6
	v_mad_u64_u32 v[3:4], s[10:11], s3, v67, v[3:4]
	v_add_co_u32_e32 v9, vcc, v72, v1
	v_mov_b32_e32 v6, v3
	v_addc_co_u32_e32 v10, vcc, v81, v2, vcc
	v_lshlrev_b64 v[1:2], 4, v[5:6]
	v_or_b32_e32 v74, 24, v68
	v_add_co_u32_e32 v13, vcc, v72, v1
	v_mov_b32_e32 v1, v12
	v_mad_u64_u32 v[15:16], s[10:11], s3, v73, v[1:2]
	v_mad_u64_u32 v[16:17], s[10:11], s2, v74, 0
	v_mov_b32_e32 v12, v15
	v_addc_co_u32_e32 v14, vcc, v81, v2, vcc
	global_load_dwordx4 v[1:4], v[9:10], off
	global_load_dwordx4 v[5:8], v[13:14], off
	v_lshlrev_b64 v[9:10], 4, v[11:12]
	v_mov_b32_e32 v11, v17
	v_mad_u64_u32 v[11:12], s[10:11], s3, v74, v[11:12]
	v_add_co_u32_e32 v13, vcc, v72, v9
	v_mov_b32_e32 v17, v11
	v_or_b32_e32 v11, 32, v68
	v_addc_co_u32_e32 v14, vcc, v81, v10, vcc
	v_lshlrev_b64 v[9:10], 4, v[16:17]
	v_mad_u64_u32 v[15:16], s[10:11], s2, v11, 0
	v_add_co_u32_e32 v17, vcc, v72, v9
	v_mov_b32_e32 v9, v16
	v_mad_u64_u32 v[19:20], s[10:11], s3, v11, v[9:10]
	v_or_b32_e32 v20, 40, v68
	v_mad_u64_u32 v[25:26], s[10:11], s2, v20, 0
	v_mov_b32_e32 v16, v19
	v_addc_co_u32_e32 v18, vcc, v81, v10, vcc
	global_load_dwordx4 v[9:12], v[13:14], off
	global_load_dwordx4 v[21:24], v[17:18], off
	v_lshlrev_b64 v[13:14], 4, v[15:16]
	v_mov_b32_e32 v15, v26
	v_mad_u64_u32 v[15:16], s[10:11], s3, v20, v[15:16]
	v_add_co_u32_e32 v17, vcc, v72, v13
	v_mov_b32_e32 v26, v15
	v_or_b32_e32 v15, 48, v68
	v_mad_u64_u32 v[19:20], s[10:11], s2, v15, 0
	v_addc_co_u32_e32 v18, vcc, v81, v14, vcc
	v_lshlrev_b64 v[13:14], 4, v[25:26]
	v_or_b32_e32 v30, 56, v68
	v_add_co_u32_e32 v25, vcc, v72, v13
	v_mov_b32_e32 v13, v20
	v_mad_u64_u32 v[27:28], s[10:11], s3, v15, v[13:14]
	v_mad_u64_u32 v[28:29], s[10:11], s2, v30, 0
	v_mov_b32_e32 v20, v27
	v_addc_co_u32_e32 v26, vcc, v81, v14, vcc
	global_load_dwordx4 v[13:16], v[17:18], off
	global_load_dwordx4 v[33:36], v[25:26], off
	v_lshlrev_b64 v[17:18], 4, v[19:20]
	v_mov_b32_e32 v19, v29
	v_or_b32_e32 v71, 4, v68
	v_mad_u64_u32 v[19:20], s[10:11], s3, v30, v[19:20]
	v_mad_u64_u32 v[25:26], s[10:11], s2, v71, 0
	v_mov_b32_e32 v29, v19
	v_or_b32_e32 v70, 12, v68
	v_mad_u64_u32 v[26:27], s[10:11], s3, v71, v[26:27]
	v_lshlrev_b64 v[19:20], 4, v[28:29]
	v_mad_u64_u32 v[27:28], s[10:11], s2, v70, 0
	v_add_co_u32_e32 v17, vcc, v72, v17
	v_addc_co_u32_e32 v18, vcc, v81, v18, vcc
	v_add_co_u32_e32 v19, vcc, v72, v19
	v_addc_co_u32_e32 v20, vcc, v81, v20, vcc
	global_load_dwordx4 v[49:52], v[17:18], off
	global_load_dwordx4 v[45:48], v[19:20], off
	v_mov_b32_e32 v19, v28
	v_mad_u64_u32 v[19:20], s[10:11], s3, v70, v[19:20]
	v_lshlrev_b64 v[17:18], 4, v[25:26]
	v_or_b32_e32 v75, 20, v68
	v_add_co_u32_e32 v25, vcc, v72, v17
	v_mov_b32_e32 v28, v19
	v_addc_co_u32_e32 v26, vcc, v81, v18, vcc
	v_lshlrev_b64 v[17:18], 4, v[27:28]
	v_mad_u64_u32 v[27:28], s[10:11], s2, v75, 0
	v_add_co_u32_e32 v37, vcc, v72, v17
	v_mov_b32_e32 v17, v28
	v_or_b32_e32 v76, 28, v68
	v_mad_u64_u32 v[28:29], s[10:11], s3, v75, v[17:18]
	v_mad_u64_u32 v[39:40], s[10:11], s2, v76, 0
	v_addc_co_u32_e32 v38, vcc, v81, v18, vcc
	global_load_dwordx4 v[17:20], v[25:26], off
	global_load_dwordx4 v[29:32], v[37:38], off
	v_lshlrev_b64 v[25:26], 4, v[27:28]
	v_mov_b32_e32 v27, v40
	v_mad_u64_u32 v[27:28], s[10:11], s3, v76, v[27:28]
	v_add_co_u32_e32 v37, vcc, v72, v25
	v_mov_b32_e32 v40, v27
	v_or_b32_e32 v27, 36, v68
	v_addc_co_u32_e32 v38, vcc, v81, v26, vcc
	v_lshlrev_b64 v[25:26], 4, v[39:40]
	v_mad_u64_u32 v[39:40], s[10:11], s2, v27, 0
	v_add_co_u32_e32 v53, vcc, v72, v25
	v_mov_b32_e32 v25, v40
	v_or_b32_e32 v57, 44, v68
	v_mad_u64_u32 v[40:41], s[10:11], s3, v27, v[25:26]
	v_mad_u64_u32 v[55:56], s[10:11], s2, v57, 0
	v_addc_co_u32_e32 v54, vcc, v81, v26, vcc
	global_load_dwordx4 v[25:28], v[37:38], off
	global_load_dwordx4 v[41:44], v[53:54], off
	v_lshlrev_b64 v[37:38], 4, v[39:40]
	v_mov_b32_e32 v39, v56
	v_mad_u64_u32 v[39:40], s[10:11], s3, v57, v[39:40]
	v_add_co_u32_e32 v57, vcc, v72, v37
	v_mov_b32_e32 v56, v39
	v_or_b32_e32 v39, 52, v68
	v_mad_u64_u32 v[59:60], s[10:11], s2, v39, 0
	v_addc_co_u32_e32 v58, vcc, v81, v38, vcc
	v_lshlrev_b64 v[37:38], 4, v[55:56]
	v_add_co_u32_e32 v61, vcc, v72, v37
	v_mov_b32_e32 v37, v60
	v_mad_u64_u32 v[63:64], s[10:11], s3, v39, v[37:38]
	v_or_b32_e32 v64, 60, v68
	v_mad_u64_u32 v[77:78], s[10:11], s2, v64, 0
	v_mov_b32_e32 v60, v63
	v_addc_co_u32_e32 v62, vcc, v81, v38, vcc
	global_load_dwordx4 v[37:40], v[57:58], off
	global_load_dwordx4 v[53:56], v[61:62], off
	v_lshlrev_b64 v[57:58], 4, v[59:60]
	v_mov_b32_e32 v59, v78
	v_mad_u64_u32 v[59:60], s[10:11], s3, v64, v[59:60]
	v_add_co_u32_e32 v79, vcc, v72, v57
	v_mov_b32_e32 v78, v59
	v_addc_co_u32_e32 v80, vcc, v81, v58, vcc
	v_lshlrev_b64 v[57:58], 4, v[77:78]
	v_add_co_u32_e32 v77, vcc, v72, v57
	v_addc_co_u32_e32 v78, vcc, v81, v58, vcc
	global_load_dwordx4 v[57:60], v[79:80], off
	global_load_dwordx4 v[61:64], v[77:78], off
.LBB0_10:
	s_or_b64 exec, exec, s[8:9]
	v_or_b32_e32 v72, 48, v68
	s_cbranch_execz .LBB0_12
	s_branch .LBB0_13
.LBB0_11:
                                        ; implicit-def: $vgpr1_vgpr2
                                        ; implicit-def: $vgpr45_vgpr46
                                        ; implicit-def: $vgpr17_vgpr18
                                        ; implicit-def: $vgpr71
                                        ; implicit-def: $vgpr67
                                        ; implicit-def: $vgpr70
                                        ; implicit-def: $vgpr73
                                        ; implicit-def: $vgpr75
                                        ; implicit-def: $vgpr74
                                        ; implicit-def: $vgpr76
                                        ; implicit-def: $vgpr61_vgpr62
                                        ; implicit-def: $vgpr57_vgpr58
                                        ; implicit-def: $vgpr53_vgpr54
                                        ; implicit-def: $vgpr37_vgpr38
                                        ; implicit-def: $vgpr41_vgpr42
                                        ; implicit-def: $vgpr25_vgpr26
                                        ; implicit-def: $vgpr29_vgpr30
                                        ; implicit-def: $vgpr49_vgpr50
                                        ; implicit-def: $vgpr33_vgpr34
                                        ; implicit-def: $vgpr13_vgpr14
                                        ; implicit-def: $vgpr21_vgpr22
                                        ; implicit-def: $vgpr9_vgpr10
                                        ; implicit-def: $vgpr5_vgpr6
	s_andn2_b64 vcc, exec, s[8:9]
	v_or_b32_e32 v72, 48, v68
	s_cbranch_vccnz .LBB0_13
.LBB0_12:
	s_waitcnt vmcnt(15)
	v_mad_u64_u32 v[1:2], s[8:9], s4, v69, 0
	v_mad_u64_u32 v[3:4], s[8:9], s2, v68, 0
	v_or_b32_e32 v67, 8, v68
	v_or_b32_e32 v73, 16, v68
	s_waitcnt vmcnt(14)
	v_mad_u64_u32 v[5:6], s[8:9], s5, v69, v[2:3]
	v_mov_b32_e32 v2, v4
	v_mad_u64_u32 v[6:7], s[8:9], s3, v68, v[2:3]
	s_lshl_b64 s[8:9], s[6:7], 4
	s_add_u32 s10, s12, s8
	s_addc_u32 s8, s13, s9
	v_mov_b32_e32 v2, v5
	v_mov_b32_e32 v4, v6
	;; [unrolled: 1-line block ×3, first 2 shown]
	v_mad_u64_u32 v[5:6], s[8:9], s2, v67, 0
	v_lshlrev_b64 v[1:2], 4, v[1:2]
	s_waitcnt vmcnt(13)
	v_mad_u64_u32 v[11:12], s[8:9], s2, v73, 0
	v_add_co_u32_e32 v81, vcc, s10, v1
	v_addc_co_u32_e32 v82, vcc, v7, v2, vcc
	v_lshlrev_b64 v[1:2], 4, v[3:4]
	v_mov_b32_e32 v3, v6
	v_mad_u64_u32 v[3:4], s[8:9], s3, v67, v[3:4]
	v_add_co_u32_e32 v9, vcc, v81, v1
	v_mov_b32_e32 v6, v3
	v_addc_co_u32_e32 v10, vcc, v82, v2, vcc
	v_lshlrev_b64 v[1:2], 4, v[5:6]
	v_or_b32_e32 v74, 24, v68
	s_waitcnt vmcnt(11)
	v_add_co_u32_e32 v13, vcc, v81, v1
	v_mov_b32_e32 v1, v12
	v_mad_u64_u32 v[15:16], s[8:9], s3, v73, v[1:2]
	s_waitcnt vmcnt(7)
	v_mad_u64_u32 v[16:17], s[8:9], s2, v74, 0
	v_mov_b32_e32 v12, v15
	v_addc_co_u32_e32 v14, vcc, v82, v2, vcc
	global_load_dwordx4 v[1:4], v[9:10], off
	global_load_dwordx4 v[5:8], v[13:14], off
	v_lshlrev_b64 v[9:10], 4, v[11:12]
	v_mov_b32_e32 v11, v17
	v_mad_u64_u32 v[11:12], s[8:9], s3, v74, v[11:12]
	v_add_co_u32_e32 v13, vcc, v81, v9
	v_mov_b32_e32 v17, v11
	v_or_b32_e32 v11, 32, v68
	v_addc_co_u32_e32 v14, vcc, v82, v10, vcc
	v_lshlrev_b64 v[9:10], 4, v[16:17]
	v_mad_u64_u32 v[15:16], s[8:9], s2, v11, 0
	v_add_co_u32_e32 v17, vcc, v81, v9
	v_mov_b32_e32 v9, v16
	v_mad_u64_u32 v[19:20], s[8:9], s3, v11, v[9:10]
	v_or_b32_e32 v20, 40, v68
	s_waitcnt vmcnt(7)
	v_mad_u64_u32 v[25:26], s[8:9], s2, v20, 0
	v_mov_b32_e32 v16, v19
	v_addc_co_u32_e32 v18, vcc, v82, v10, vcc
	global_load_dwordx4 v[9:12], v[13:14], off
	global_load_dwordx4 v[21:24], v[17:18], off
	v_lshlrev_b64 v[13:14], 4, v[15:16]
	v_mov_b32_e32 v15, v26
	v_mad_u64_u32 v[15:16], s[8:9], s3, v20, v[15:16]
	v_mad_u64_u32 v[19:20], s[8:9], s2, v72, 0
	v_add_co_u32_e32 v17, vcc, v81, v13
	v_mov_b32_e32 v26, v15
	v_addc_co_u32_e32 v18, vcc, v82, v14, vcc
	v_lshlrev_b64 v[13:14], 4, v[25:26]
	v_or_b32_e32 v30, 56, v68
	v_add_co_u32_e32 v25, vcc, v81, v13
	v_mov_b32_e32 v13, v20
	v_mad_u64_u32 v[27:28], s[8:9], s3, v72, v[13:14]
	v_mad_u64_u32 v[28:29], s[8:9], s2, v30, 0
	v_mov_b32_e32 v20, v27
	v_addc_co_u32_e32 v26, vcc, v82, v14, vcc
	global_load_dwordx4 v[13:16], v[17:18], off
	global_load_dwordx4 v[33:36], v[25:26], off
	v_lshlrev_b64 v[17:18], 4, v[19:20]
	v_mov_b32_e32 v19, v29
	v_or_b32_e32 v71, 4, v68
	v_mad_u64_u32 v[19:20], s[8:9], s3, v30, v[19:20]
	v_mad_u64_u32 v[25:26], s[8:9], s2, v71, 0
	v_mov_b32_e32 v29, v19
	v_or_b32_e32 v70, 12, v68
	v_mad_u64_u32 v[26:27], s[8:9], s3, v71, v[26:27]
	v_lshlrev_b64 v[19:20], 4, v[28:29]
	v_mad_u64_u32 v[27:28], s[8:9], s2, v70, 0
	v_add_co_u32_e32 v17, vcc, v81, v17
	v_addc_co_u32_e32 v18, vcc, v82, v18, vcc
	v_add_co_u32_e32 v19, vcc, v81, v19
	v_addc_co_u32_e32 v20, vcc, v82, v20, vcc
	global_load_dwordx4 v[49:52], v[17:18], off
	global_load_dwordx4 v[45:48], v[19:20], off
	v_mov_b32_e32 v19, v28
	v_mad_u64_u32 v[19:20], s[8:9], s3, v70, v[19:20]
	v_lshlrev_b64 v[17:18], 4, v[25:26]
	v_or_b32_e32 v75, 20, v68
	v_add_co_u32_e32 v25, vcc, v81, v17
	v_mov_b32_e32 v28, v19
	v_addc_co_u32_e32 v26, vcc, v82, v18, vcc
	v_lshlrev_b64 v[17:18], 4, v[27:28]
	v_mad_u64_u32 v[27:28], s[8:9], s2, v75, 0
	s_waitcnt vmcnt(11)
	v_add_co_u32_e32 v37, vcc, v81, v17
	v_mov_b32_e32 v17, v28
	v_or_b32_e32 v76, 28, v68
	v_mad_u64_u32 v[28:29], s[8:9], s3, v75, v[17:18]
	v_mad_u64_u32 v[39:40], s[8:9], s2, v76, 0
	v_addc_co_u32_e32 v38, vcc, v82, v18, vcc
	global_load_dwordx4 v[17:20], v[25:26], off
	global_load_dwordx4 v[29:32], v[37:38], off
	v_lshlrev_b64 v[25:26], 4, v[27:28]
	v_mov_b32_e32 v27, v40
	v_mad_u64_u32 v[27:28], s[8:9], s3, v76, v[27:28]
	v_add_co_u32_e32 v37, vcc, v81, v25
	v_mov_b32_e32 v40, v27
	v_or_b32_e32 v27, 36, v68
	v_addc_co_u32_e32 v38, vcc, v82, v26, vcc
	v_lshlrev_b64 v[25:26], 4, v[39:40]
	v_mad_u64_u32 v[39:40], s[8:9], s2, v27, 0
	s_waitcnt vmcnt(12)
	v_add_co_u32_e32 v53, vcc, v81, v25
	v_mov_b32_e32 v25, v40
	s_waitcnt vmcnt(11)
	v_or_b32_e32 v57, 44, v68
	v_mad_u64_u32 v[40:41], s[8:9], s3, v27, v[25:26]
	v_mad_u64_u32 v[55:56], s[8:9], s2, v57, 0
	v_addc_co_u32_e32 v54, vcc, v82, v26, vcc
	global_load_dwordx4 v[25:28], v[37:38], off
	global_load_dwordx4 v[41:44], v[53:54], off
	v_lshlrev_b64 v[37:38], 4, v[39:40]
	v_mov_b32_e32 v39, v56
	v_mad_u64_u32 v[39:40], s[8:9], s3, v57, v[39:40]
	v_add_co_u32_e32 v57, vcc, v81, v37
	v_mov_b32_e32 v56, v39
	v_or_b32_e32 v39, 52, v68
	v_mad_u64_u32 v[59:60], s[8:9], s2, v39, 0
	v_addc_co_u32_e32 v58, vcc, v82, v38, vcc
	v_lshlrev_b64 v[37:38], 4, v[55:56]
	s_waitcnt vmcnt(12)
	v_add_co_u32_e32 v61, vcc, v81, v37
	v_mov_b32_e32 v37, v60
	v_mad_u64_u32 v[63:64], s[8:9], s3, v39, v[37:38]
	v_or_b32_e32 v64, 60, v68
	v_mad_u64_u32 v[77:78], s[8:9], s2, v64, 0
	v_mov_b32_e32 v60, v63
	v_addc_co_u32_e32 v62, vcc, v82, v38, vcc
	global_load_dwordx4 v[37:40], v[57:58], off
	global_load_dwordx4 v[53:56], v[61:62], off
	v_lshlrev_b64 v[57:58], 4, v[59:60]
	v_mov_b32_e32 v59, v78
	v_mad_u64_u32 v[59:60], s[8:9], s3, v64, v[59:60]
	v_add_co_u32_e32 v79, vcc, v81, v57
	v_mov_b32_e32 v78, v59
	v_addc_co_u32_e32 v80, vcc, v82, v58, vcc
	v_lshlrev_b64 v[57:58], 4, v[77:78]
	v_add_co_u32_e32 v77, vcc, v81, v57
	v_addc_co_u32_e32 v78, vcc, v82, v58, vcc
	global_load_dwordx4 v[57:60], v[79:80], off
	global_load_dwordx4 v[61:64], v[77:78], off
.LBB0_13:
	s_waitcnt vmcnt(9)
	v_add_f64 v[49:50], v[9:10], -v[49:50]
	s_waitcnt vmcnt(8)
	v_add_f64 v[47:48], v[23:24], -v[47:48]
	v_add_f64 v[13:14], v[1:2], -v[13:14]
	;; [unrolled: 1-line block ×6, first 2 shown]
	s_mov_b32 s8, 0x667f3bcd
	v_fma_f64 v[9:10], v[9:10], 2.0, -v[49:50]
	v_fma_f64 v[23:24], v[23:24], 2.0, -v[47:48]
	;; [unrolled: 1-line block ×4, first 2 shown]
	v_add_f64 v[79:80], v[51:52], v[13:14]
	v_add_f64 v[47:48], v[33:34], v[47:48]
	s_mov_b32 s9, 0xbfe6a09e
	s_mov_b32 s11, 0x3fe6a09e
	;; [unrolled: 1-line block ×3, first 2 shown]
	v_add_f64 v[81:82], v[35:36], -v[45:46]
	v_add_f64 v[9:10], v[77:78], -v[9:10]
	;; [unrolled: 1-line block ×3, first 2 shown]
	v_fma_f64 v[21:22], v[21:22], 2.0, -v[45:46]
	v_fma_f64 v[1:2], v[47:48], s[10:11], v[79:80]
	s_waitcnt vmcnt(2)
	v_add_f64 v[53:54], v[29:30], -v[53:54]
	s_waitcnt vmcnt(0)
	v_add_f64 v[61:62], v[41:42], -v[61:62]
	v_add_f64 v[57:58], v[25:26], -v[57:58]
	;; [unrolled: 1-line block ×3, first 2 shown]
	v_fma_f64 v[11:12], v[11:12], 2.0, -v[51:52]
	v_add_f64 v[45:46], v[23:24], v[9:10]
	v_add_f64 v[51:52], v[27:28], -v[59:60]
	v_fma_f64 v[83:84], v[81:82], s[10:11], v[1:2]
	v_lshlrev_b32_e32 v2, 10, v68
	v_lshlrev_b32_e32 v1, 3, v69
	v_add3_u32 v101, 0, v2, v1
	v_fma_f64 v[5:6], v[5:6], 2.0, -v[33:34]
	v_fma_f64 v[25:26], v[25:26], 2.0, -v[57:58]
	;; [unrolled: 1-line block ×6, first 2 shown]
	ds_write2_b64 v101, v[45:46], v[83:84] offset0:96 offset1:112
	ds_write2_b64 v101, v[85:86], v[87:88] offset0:32 offset1:48
	v_add_f64 v[45:46], v[43:44], -v[63:64]
	v_fma_f64 v[41:42], v[41:42], 2.0, -v[61:62]
	v_add_f64 v[55:56], v[31:32], -v[55:56]
	v_add_f64 v[59:60], v[51:52], v[37:38]
	v_add_f64 v[15:16], v[3:4], -v[15:16]
	v_add_f64 v[21:22], v[5:6], -v[21:22]
	v_fma_f64 v[13:14], v[13:14], 2.0, -v[79:80]
	v_fma_f64 v[33:34], v[33:34], 2.0, -v[47:48]
	v_add_f64 v[63:64], v[53:54], v[45:46]
	v_add_f64 v[25:26], v[17:18], -v[25:26]
	v_add_f64 v[41:42], v[29:30], -v[41:42]
	;; [unrolled: 1-line block ×3, first 2 shown]
	v_fma_f64 v[37:38], v[37:38], 2.0, -v[59:60]
	v_fma_f64 v[2:3], v[3:4], 2.0, -v[15:16]
	;; [unrolled: 1-line block ×8, first 2 shown]
	v_fma_f64 v[77:78], v[33:34], s[8:9], v[13:14]
	v_add_f64 v[49:50], v[15:16], -v[49:50]
	v_fma_f64 v[17:18], v[17:18], 2.0, -v[25:26]
	v_fma_f64 v[29:30], v[29:30], 2.0, -v[41:42]
	;; [unrolled: 1-line block ×3, first 2 shown]
	v_fma_f64 v[45:46], v[53:54], s[8:9], v[37:38]
	v_add_f64 v[85:86], v[2:3], -v[11:12]
	v_fma_f64 v[61:62], v[63:64], s[10:11], v[59:60]
	v_add_f64 v[83:84], v[31:32], -v[43:44]
	v_add_f64 v[4:5], v[9:10], -v[5:6]
	v_fma_f64 v[11:12], v[15:16], 2.0, -v[49:50]
	v_fma_f64 v[15:16], v[35:36], s[10:11], v[77:78]
	v_add_f64 v[29:30], v[17:18], -v[29:30]
	v_fma_f64 v[43:44], v[55:56], s[10:11], v[45:46]
	v_fma_f64 v[6:7], v[7:8], 2.0, -v[23:24]
	v_fma_f64 v[2:3], v[2:3], 2.0, -v[85:86]
	v_fma_f64 v[45:46], v[79:80], s[10:11], v[61:62]
	v_add_f64 v[61:62], v[83:84], v[25:26]
	v_fma_f64 v[8:9], v[9:10], 2.0, -v[4:5]
	v_fma_f64 v[13:14], v[13:14], 2.0, -v[15:16]
	v_fma_f64 v[23:24], v[35:36], s[8:9], v[11:12]
	v_fma_f64 v[17:18], v[17:18], 2.0, -v[29:30]
	v_fma_f64 v[35:36], v[37:38], 2.0, -v[43:44]
	v_add_f64 v[77:78], v[2:3], -v[6:7]
	v_fma_f64 v[37:38], v[59:60], 2.0, -v[45:46]
	v_fma_f64 v[25:26], v[25:26], 2.0, -v[61:62]
	ds_write2_b64 v101, v[4:5], v[15:16] offset0:64 offset1:80
	ds_write2_b64 v101, v[8:9], v[13:14] offset1:16
	v_lshlrev_b32_e32 v4, 10, v71
	v_add3_u32 v102, 0, v4, v1
	ds_write2_b64 v102, v[17:18], v[35:36] offset1:16
	ds_write2_b64 v102, v[25:26], v[37:38] offset0:32 offset1:48
	v_fma_f64 v[25:26], v[2:3], 2.0, -v[77:78]
	v_add_f64 v[2:3], v[19:20], -v[39:40]
	v_lshlrev_b32_e32 v4, 7, v67
	ds_write2_b64 v102, v[29:30], v[43:44] offset0:64 offset1:80
	ds_write2_b64 v102, v[61:62], v[45:46] offset0:96 offset1:112
	v_add3_u32 v45, 0, v4, v1
	v_lshlrev_b32_e32 v4, 7, v70
	v_add3_u32 v62, 0, v4, v1
	v_lshlrev_b32_e32 v4, 7, v73
	v_add3_u32 v60, 0, v4, v1
	v_fma_f64 v[4:5], v[27:28], 2.0, -v[51:52]
	v_add_f64 v[27:28], v[2:3], -v[57:58]
	v_fma_f64 v[6:7], v[19:20], 2.0, -v[2:3]
	v_fma_f64 v[23:24], v[33:34], s[8:9], v[23:24]
	v_add_f64 v[20:21], v[85:86], -v[21:22]
	v_lshlrev_b32_e32 v8, 7, v75
	s_movk_i32 s18, 0xfc80
	v_add3_u32 v58, 0, v8, v1
	v_lshlrev_b32_e32 v8, 7, v74
	v_fma_f64 v[18:19], v[2:3], 2.0, -v[27:28]
	v_add_f64 v[29:30], v[6:7], -v[4:5]
	v_fma_f64 v[33:34], v[11:12], 2.0, -v[23:24]
	v_fma_f64 v[10:11], v[81:82], s[10:11], v[49:50]
	v_fma_f64 v[12:13], v[31:32], 2.0, -v[83:84]
	v_fma_f64 v[16:17], v[79:80], s[10:11], v[27:28]
	v_mad_i32_i24 v59, v68, s18, v101
	v_mad_i32_i24 v44, v71, s18, v102
	v_fma_f64 v[14:15], v[55:56], s[8:9], v[18:19]
	v_fma_f64 v[31:32], v[6:7], 2.0, -v[29:30]
	v_add_f64 v[41:42], v[29:30], -v[41:42]
	v_fma_f64 v[35:36], v[47:48], s[8:9], v[10:11]
	v_add3_u32 v61, 0, v8, v1
	v_fma_f64 v[46:47], v[63:64], s[8:9], v[16:17]
	v_lshlrev_b32_e32 v8, 7, v76
	v_and_b32_e32 v104, 7, v76
	v_fma_f64 v[39:40], v[53:54], s[8:9], v[14:15]
	v_add_f64 v[37:38], v[31:32], -v[12:13]
	v_fma_f64 v[53:54], v[85:86], 2.0, -v[20:21]
	v_fma_f64 v[48:49], v[49:50], 2.0, -v[35:36]
	;; [unrolled: 1-line block ×4, first 2 shown]
	s_waitcnt lgkmcnt(0)
	; wave barrier
	s_waitcnt lgkmcnt(0)
	v_fma_f64 v[18:19], v[18:19], 2.0, -v[39:40]
	v_fma_f64 v[31:32], v[31:32], 2.0, -v[37:38]
	v_add3_u32 v103, 0, v8, v1
	ds_read_b64 v[87:88], v44
	ds_read_b64 v[89:90], v45
	;; [unrolled: 1-line block ×7, first 2 shown]
	ds_read_b64 v[51:52], v59 offset:7680
	ds_read2st64_b64 v[2:5], v59 offset0:13 offset1:14
	ds_read2st64_b64 v[6:9], v59 offset1:8
	ds_read2st64_b64 v[10:13], v59 offset0:9 offset1:10
	ds_read2st64_b64 v[14:17], v59 offset0:11 offset1:12
	s_waitcnt lgkmcnt(0)
	; wave barrier
	s_waitcnt lgkmcnt(0)
	ds_write2_b64 v101, v[25:26], v[33:34] offset1:16
	ds_write2_b64 v101, v[53:54], v[48:49] offset0:32 offset1:48
	ds_write2_b64 v101, v[77:78], v[23:24] offset0:64 offset1:80
	;; [unrolled: 1-line block ×3, first 2 shown]
	ds_write2_b64 v102, v[31:32], v[18:19] offset1:16
	ds_write2_b64 v102, v[29:30], v[27:28] offset0:32 offset1:48
	ds_write2_b64 v102, v[37:38], v[39:40] offset0:64 offset1:80
	ds_write2_b64 v102, v[41:42], v[46:47] offset0:96 offset1:112
	v_lshlrev_b32_e32 v18, 4, v104
	s_waitcnt lgkmcnt(0)
	; wave barrier
	s_waitcnt lgkmcnt(0)
	global_load_dwordx4 v[18:21], v18, s[14:15]
	v_and_b32_e32 v0, 48, v0
	global_load_dwordx4 v[26:29], v0, s[14:15]
	v_and_b32_e32 v105, 7, v71
	v_lshlrev_b32_e32 v22, 4, v105
	global_load_dwordx4 v[22:25], v22, s[14:15]
	v_and_b32_e32 v0, 7, v70
	v_lshlrev_b32_e32 v30, 4, v0
	;; [unrolled: 3-line block ×3, first 2 shown]
	global_load_dwordx4 v[34:37], v34, s[14:15]
	ds_read_b64 v[42:43], v59 offset:7680
	ds_read2st64_b64 v[38:41], v59 offset0:13 offset1:14
	ds_read2st64_b64 v[46:49], v59 offset0:9 offset1:10
	s_movk_i32 s8, 0xf0
	v_cmp_gt_u64_e32 vcc, s[16:17], v[65:66]
	s_or_b64 s[0:1], s[0:1], vcc
	s_waitcnt vmcnt(4) lgkmcnt(2)
	v_mul_f64 v[53:54], v[42:43], v[20:21]
	v_mul_f64 v[20:21], v[51:52], v[20:21]
	s_waitcnt vmcnt(3)
	v_mul_f64 v[81:82], v[12:13], v[28:29]
	v_fma_f64 v[63:64], v[51:52], v[18:19], v[53:54]
	ds_read2st64_b64 v[50:53], v59 offset0:11 offset1:12
	ds_read2st64_b64 v[54:57], v59 offset1:8
	s_waitcnt vmcnt(2) lgkmcnt(2)
	v_mul_f64 v[77:78], v[46:47], v[24:25]
	v_fma_f64 v[101:102], v[42:43], v[18:19], -v[20:21]
	v_mul_f64 v[79:80], v[48:49], v[28:29]
	v_mul_f64 v[24:25], v[10:11], v[24:25]
	s_waitcnt lgkmcnt(0)
	v_mul_f64 v[85:86], v[56:57], v[28:29]
	s_waitcnt vmcnt(1)
	v_mul_f64 v[83:84], v[50:51], v[32:33]
	v_mul_f64 v[32:33], v[14:15], v[32:33]
	;; [unrolled: 1-line block ×3, first 2 shown]
	v_fma_f64 v[10:11], v[10:11], v[22:23], v[77:78]
	v_mul_f64 v[42:43], v[40:41], v[28:29]
	v_fma_f64 v[12:13], v[12:13], v[26:27], v[79:80]
	v_fma_f64 v[24:25], v[46:47], v[22:23], -v[24:25]
	v_fma_f64 v[18:19], v[8:9], v[26:27], v[85:86]
	v_fma_f64 v[46:47], v[48:49], v[26:27], -v[81:82]
	;; [unrolled: 2-line block ×3, first 2 shown]
	v_mul_f64 v[22:23], v[16:17], v[28:29]
	s_waitcnt vmcnt(0)
	v_mul_f64 v[32:33], v[38:39], v[36:37]
	v_mul_f64 v[36:37], v[2:3], v[36:37]
	;; [unrolled: 1-line block ×3, first 2 shown]
	v_add_f64 v[18:19], v[6:7], -v[18:19]
	v_mul_f64 v[8:9], v[8:9], v[28:29]
	v_add_f64 v[10:11], v[87:88], -v[10:11]
	v_fma_f64 v[16:17], v[16:17], v[26:27], v[20:21]
	v_lshlrev_b32_e32 v20, 7, v68
	v_add_f64 v[12:13], v[89:90], -v[12:13]
	v_fma_f64 v[28:29], v[52:53], v[26:27], -v[22:23]
	v_fma_f64 v[2:3], v[2:3], v[34:35], v[32:33]
	v_fma_f64 v[6:7], v[6:7], 2.0, -v[18:19]
	v_fma_f64 v[32:33], v[38:39], v[34:35], -v[36:37]
	v_fma_f64 v[4:5], v[4:5], v[26:27], v[42:43]
	v_fma_f64 v[34:35], v[40:41], v[26:27], -v[48:49]
	v_fma_f64 v[8:9], v[56:57], v[26:27], -v[8:9]
	ds_read_b64 v[26:27], v58
	ds_read_b64 v[36:37], v61
	;; [unrolled: 1-line block ×3, first 2 shown]
	v_add3_u32 v58, 0, v20, v1
	v_fma_f64 v[20:21], v[87:88], 2.0, -v[10:11]
	ds_read_b64 v[48:49], v44
	ds_read_b64 v[52:53], v45
	ds_read_b64 v[77:78], v62
	ds_read_b64 v[79:80], v60
	s_waitcnt lgkmcnt(0)
	; wave barrier
	s_waitcnt lgkmcnt(0)
	ds_write2st64_b64 v58, v[6:7], v[18:19] offset1:2
	v_lshlrev_b32_e32 v6, 1, v71
	v_and_or_b32 v6, v6, s8, v105
	v_lshlrev_b32_e32 v18, 7, v6
	v_fma_f64 v[6:7], v[89:90], 2.0, -v[12:13]
	v_add3_u32 v61, 0, v18, v1
	ds_write2st64_b64 v61, v[20:21], v[10:11] offset1:2
	v_add_f64 v[10:11], v[91:92], -v[14:15]
	v_lshlrev_b32_e32 v14, 1, v67
	v_and_or_b32 v14, v14, s8, v68
	v_lshlrev_b32_e32 v14, 7, v14
	v_add3_u32 v83, 0, v14, v1
	ds_write2st64_b64 v83, v[6:7], v[12:13] offset1:2
	v_lshlrev_b32_e32 v6, 1, v70
	v_and_or_b32 v0, v6, s8, v0
	v_fma_f64 v[6:7], v[91:92], 2.0, -v[10:11]
	v_add_f64 v[81:82], v[54:55], -v[8:9]
	v_add_f64 v[8:9], v[93:94], -v[16:17]
	;; [unrolled: 1-line block ×5, first 2 shown]
	v_lshlrev_b32_e32 v0, 7, v0
	v_add3_u32 v84, 0, v0, v1
	v_lshlrev_b32_e32 v0, 1, v73
	v_and_or_b32 v0, v0, s8, v68
	v_lshlrev_b32_e32 v0, 7, v0
	v_add3_u32 v85, 0, v0, v1
	v_lshlrev_b32_e32 v0, 1, v75
	v_and_or_b32 v0, v0, s8, v106
	ds_write2st64_b64 v84, v[6:7], v[10:11] offset1:2
	v_fma_f64 v[6:7], v[93:94], 2.0, -v[8:9]
	v_fma_f64 v[10:11], v[95:96], 2.0, -v[2:3]
	;; [unrolled: 1-line block ×4, first 2 shown]
	v_lshlrev_b32_e32 v0, 7, v0
	v_add3_u32 v86, 0, v0, v1
	v_lshlrev_b32_e32 v0, 1, v74
	v_and_or_b32 v0, v0, s8, v68
	v_lshlrev_b32_e32 v0, 7, v0
	v_add3_u32 v87, 0, v0, v1
	v_lshlrev_b32_e32 v0, 1, v76
	v_and_or_b32 v0, v0, s8, v104
	v_lshlrev_b32_e32 v0, 7, v0
	v_add_f64 v[24:25], v[48:49], -v[24:25]
	v_add3_u32 v88, 0, v0, v1
	v_add_f64 v[46:47], v[52:53], -v[46:47]
	ds_write2st64_b64 v85, v[6:7], v[8:9] offset1:2
	ds_write2st64_b64 v86, v[10:11], v[2:3] offset1:2
	;; [unrolled: 1-line block ×4, first 2 shown]
	s_waitcnt lgkmcnt(0)
	; wave barrier
	s_waitcnt lgkmcnt(0)
	ds_read2st64_b64 v[0:3], v59 offset1:5
	ds_read_b64 v[50:51], v44
	ds_read_b64 v[40:41], v45
	ds_read2st64_b64 v[8:11], v59 offset0:8 offset1:9
	ds_read2st64_b64 v[20:23], v59 offset0:6 offset1:7
	ds_read_b64 v[56:57], v60
	ds_read_b64 v[42:43], v62
	ds_read2st64_b64 v[4:7], v59 offset0:12 offset1:13
	ds_read2st64_b64 v[16:19], v59 offset0:10 offset1:11
	;; [unrolled: 1-line block ×3, first 2 shown]
	v_add_f64 v[30:31], v[77:78], -v[30:31]
	v_add_f64 v[28:29], v[79:80], -v[28:29]
	;; [unrolled: 1-line block ×5, first 2 shown]
	v_fma_f64 v[54:55], v[54:55], 2.0, -v[81:82]
	v_fma_f64 v[48:49], v[48:49], 2.0, -v[24:25]
	;; [unrolled: 1-line block ×8, first 2 shown]
	s_waitcnt lgkmcnt(0)
	; wave barrier
	s_waitcnt lgkmcnt(0)
	ds_write2st64_b64 v58, v[54:55], v[81:82] offset1:2
	ds_write2st64_b64 v61, v[48:49], v[24:25] offset1:2
	;; [unrolled: 1-line block ×8, first 2 shown]
	s_waitcnt lgkmcnt(0)
	; wave barrier
	s_waitcnt lgkmcnt(0)
	s_and_saveexec_b64 s[8:9], s[0:1]
	s_cbranch_execz .LBB0_15
; %bb.14:
	v_and_b32_e32 v58, 15, v70
	v_mul_u32_u24_e32 v24, 3, v58
	v_lshlrev_b32_e32 v24, 4, v24
	global_load_dwordx4 v[32:35], v24, s[14:15] offset:144
	global_load_dwordx4 v[36:39], v24, s[14:15] offset:128
	;; [unrolled: 1-line block ×3, first 2 shown]
	v_or_b32_e32 v46, 48, v58
	v_mul_lo_u32 v64, v58, v65
	v_mul_lo_u32 v46, v46, v65
	v_lshlrev_b32_e32 v63, 4, v65
	s_add_i32 s0, 0, 0x2000
	v_and_b32_e32 v47, 31, v64
	v_lshrrev_b32_e32 v48, 6, v46
	v_and_b32_e32 v49, 31, v46
	v_lshrrev_b32_e32 v52, 1, v46
	v_sub_u32_e32 v46, v46, v63
	v_lshl_add_u32 v47, v47, 4, 0
	v_and_b32_e32 v48, 0x1f0, v48
	ds_read2st64_b64 v[24:27], v59 offset0:14 offset1:15
	v_and_b32_e32 v52, 0x1f0, v52
	v_sub_u32_e32 v53, v46, v63
	v_lshrrev_b32_e32 v54, 6, v46
	v_and_b32_e32 v55, 31, v46
	v_lshrrev_b32_e32 v46, 1, v46
	ds_read_b128 v[73:76], v47 offset:8192
	ds_read_b64 v[105:106], v47 offset:8200
	v_add_u32_e32 v47, s0, v48
	v_lshl_add_u32 v49, v49, 4, 0
	v_add_u32_e32 v48, s0, v52
	v_and_b32_e32 v66, 31, v53
	v_and_b32_e32 v46, 0x1f0, v46
	v_lshrrev_b32_e32 v81, 1, v53
	v_lshrrev_b32_e32 v82, 6, v53
	ds_read_b128 v[77:80], v47 offset:1024
	ds_read_b64 v[52:53], v49 offset:8192
	v_add_u32_e32 v85, s0, v46
	v_lshl_add_u32 v55, v55, 4, 0
	v_lshl_add_u32 v66, v66, 4, 0
	v_and_b32_e32 v89, 0x1f0, v81
	v_and_b32_e32 v97, 0x1f0, v82
	ds_read_b128 v[46:49], v48 offset:512
	ds_read_b128 v[81:84], v66 offset:8192
	ds_read_b64 v[107:108], v55 offset:8192
	ds_read_b128 v[85:88], v85 offset:512
	v_and_b32_e32 v54, 0x1f0, v54
	v_add_u32_e32 v54, s0, v54
	v_add_u32_e32 v93, s0, v89
	ds_read_b64 v[109:110], v66 offset:8200
	ds_read_b128 v[89:92], v54 offset:1024
	s_waitcnt lgkmcnt(5)
	v_mul_f64 v[54:55], v[52:53], v[48:49]
	s_waitcnt lgkmcnt(4)
	v_mul_f64 v[48:49], v[83:84], v[48:49]
	ds_read_b128 v[93:96], v93 offset:512
	v_add_u32_e32 v66, s0, v97
	ds_read_b128 v[97:100], v66 offset:1024
	s_waitcnt lgkmcnt(4)
	v_mul_f64 v[111:112], v[75:76], v[87:88]
	v_mul_f64 v[87:88], v[107:108], v[87:88]
	s_waitcnt lgkmcnt(1)
	v_mul_f64 v[113:114], v[109:110], v[95:96]
	v_fma_f64 v[83:84], v[83:84], v[46:47], v[54:55]
	v_fma_f64 v[115:116], v[52:53], v[46:47], -v[48:49]
	v_mul_f64 v[95:96], v[81:82], v[95:96]
	ds_read2st64_b64 v[101:104], v59 offset0:6 offset1:7
	ds_read2st64_b64 v[52:55], v59 offset0:8 offset1:9
	v_and_b32_e32 v61, 15, v67
	v_fma_f64 v[107:108], v[107:108], v[85:86], -v[111:112]
	v_fma_f64 v[87:88], v[75:76], v[85:86], v[87:88]
	v_fma_f64 v[111:112], v[81:82], v[93:94], -v[113:114]
	v_mul_f64 v[75:76], v[83:84], v[79:80]
	v_mul_f64 v[85:86], v[115:116], v[79:80]
	v_fma_f64 v[109:110], v[109:110], v[93:94], v[95:96]
	ds_read2st64_b64 v[79:82], v59 offset0:10 offset1:11
	ds_read2st64_b64 v[46:49], v59 offset0:12 offset1:13
	v_mul_u32_u24_e32 v66, 3, v61
	v_lshlrev_b32_e32 v66, 4, v66
	v_fma_f64 v[113:114], v[77:78], v[115:116], -v[75:76]
	v_fma_f64 v[115:116], v[77:78], v[83:84], v[85:86]
	global_load_dwordx4 v[75:78], v66, s[14:15] offset:144
	global_load_dwordx4 v[83:86], v66, s[14:15] offset:128
	s_waitcnt vmcnt(4)
	v_mul_f64 v[93:94], v[18:19], v[34:35]
	s_waitcnt vmcnt(3) lgkmcnt(3)
	v_mul_f64 v[95:96], v[103:104], v[38:39]
	s_waitcnt lgkmcnt(1)
	v_mul_f64 v[34:35], v[81:82], v[34:35]
	v_mul_f64 v[38:39], v[22:23], v[38:39]
	v_fma_f64 v[81:82], v[81:82], v[32:33], -v[93:94]
	v_fma_f64 v[22:23], v[22:23], v[36:37], v[95:96]
	global_load_dwordx4 v[93:96], v66, s[14:15] offset:160
	v_fma_f64 v[18:19], v[18:19], v[32:33], v[34:35]
	s_waitcnt vmcnt(3)
	v_mul_f64 v[32:33], v[26:27], v[30:31]
	v_mul_f64 v[30:31], v[14:15], v[30:31]
	v_fma_f64 v[34:35], v[103:104], v[36:37], -v[38:39]
	v_lshrrev_b32_e32 v38, 6, v64
	v_and_b32_e32 v38, 0x1f0, v38
	v_add_u32_e32 v38, s0, v38
	v_add_f64 v[18:19], v[42:43], -v[18:19]
	v_fma_f64 v[14:15], v[14:15], v[28:29], v[32:33]
	v_fma_f64 v[30:31], v[26:27], v[28:29], -v[30:31]
	v_mul_f64 v[26:27], v[87:88], v[91:92]
	v_mul_f64 v[28:29], v[107:108], v[91:92]
	v_fma_f64 v[42:43], v[42:43], 2.0, -v[18:19]
	v_add_f64 v[14:15], v[22:23], -v[14:15]
	v_add_f64 v[30:31], v[34:35], -v[30:31]
	v_fma_f64 v[36:37], v[89:90], v[107:108], -v[26:27]
	v_lshrrev_b32_e32 v26, 1, v64
	v_and_b32_e32 v26, 0x1f0, v26
	v_add_u32_e32 v26, s0, v26
	v_fma_f64 v[32:33], v[89:90], v[87:88], v[28:29]
	ds_read_b128 v[26:29], v26 offset:512
	ds_read_b128 v[87:90], v38 offset:1024
	v_fma_f64 v[34:35], v[34:35], 2.0, -v[30:31]
	v_add_f64 v[30:31], v[18:19], v[30:31]
	v_fma_f64 v[22:23], v[22:23], 2.0, -v[14:15]
	s_waitcnt lgkmcnt(1)
	v_mul_f64 v[38:39], v[105:106], v[28:29]
	v_mul_f64 v[28:29], v[73:74], v[28:29]
	v_fma_f64 v[18:19], v[18:19], 2.0, -v[30:31]
	v_add_f64 v[22:23], v[42:43], -v[22:23]
	v_fma_f64 v[38:39], v[73:74], v[26:27], -v[38:39]
	ds_read_b64 v[73:74], v62
	ds_read_b64 v[91:92], v45
	v_fma_f64 v[103:104], v[105:106], v[26:27], v[28:29]
	v_mul_f64 v[26:27], v[111:112], v[99:100]
	v_mul_f64 v[28:29], v[30:31], v[115:116]
	s_waitcnt lgkmcnt(1)
	v_add_f64 v[81:82], v[73:74], -v[81:82]
	v_mul_f64 v[99:100], v[109:110], v[99:100]
	v_or_b32_e32 v45, 48, v61
	v_mul_lo_u32 v45, v45, v65
	v_fma_f64 v[107:108], v[97:98], v[109:110], v[26:27]
	v_mul_f64 v[109:110], v[22:23], v[32:33]
	v_fma_f64 v[73:74], v[73:74], 2.0, -v[81:82]
	v_add_f64 v[14:15], v[81:82], -v[14:15]
	v_fma_f64 v[97:98], v[97:98], v[111:112], -v[99:100]
	v_lshrrev_b32_e32 v62, 1, v45
	v_sub_u32_e32 v64, v45, v63
	v_and_b32_e32 v62, 0x1f0, v62
	v_mul_f64 v[99:100], v[18:19], v[107:108]
	v_sub_u32_e32 v66, v64, v63
	v_add_f64 v[34:35], v[73:74], -v[34:35]
	v_mul_f64 v[105:106], v[14:15], v[115:116]
	v_fma_f64 v[81:82], v[81:82], 2.0, -v[14:15]
	v_fma_f64 v[28:29], v[14:15], v[113:114], -v[28:29]
	v_mul_f64 v[14:15], v[38:39], v[89:90]
	v_mul_f64 v[89:90], v[103:104], v[89:90]
	v_add_u32_e32 v62, s0, v62
	s_waitcnt vmcnt(2)
	v_mul_f64 v[111:112], v[79:80], v[77:78]
	v_mul_f64 v[115:116], v[34:35], v[32:33]
	v_fma_f64 v[26:27], v[30:31], v[113:114], v[105:106]
	v_mul_f64 v[105:106], v[81:82], v[107:108]
	v_fma_f64 v[32:33], v[34:35], v[36:37], -v[109:110]
	v_fma_f64 v[14:15], v[87:88], v[103:104], v[14:15]
	v_fma_f64 v[38:39], v[87:88], v[38:39], -v[89:90]
	v_fma_f64 v[30:31], v[22:23], v[36:37], v[115:116]
	v_fma_f64 v[22:23], v[42:43], 2.0, -v[22:23]
	v_fma_f64 v[42:43], v[73:74], 2.0, -v[34:35]
	v_fma_f64 v[34:35], v[18:19], v[97:98], v[105:106]
	v_mul_f64 v[18:19], v[16:17], v[77:78]
	v_fma_f64 v[36:37], v[81:82], v[97:98], -v[99:100]
	s_waitcnt vmcnt(1)
	v_mul_f64 v[73:74], v[101:102], v[85:86]
	s_waitcnt vmcnt(0)
	v_mul_f64 v[81:82], v[24:25], v[95:96]
	v_mul_f64 v[85:86], v[20:21], v[85:86]
	;; [unrolled: 1-line block ×4, first 2 shown]
	v_fma_f64 v[105:106], v[79:80], v[75:76], -v[18:19]
	v_lshrrev_b32_e32 v18, 6, v45
	v_and_b32_e32 v19, 31, v45
	v_and_b32_e32 v45, 31, v66
	v_lshl_add_u32 v115, v45, 4, 0
	ds_read_b128 v[87:90], v62 offset:512
	ds_read_b128 v[97:100], v115 offset:8192
	v_lshl_add_u32 v19, v19, 4, 0
	v_fma_f64 v[107:108], v[20:21], v[83:84], v[73:74]
	v_fma_f64 v[73:74], v[12:13], v[93:94], v[81:82]
	ds_read_b64 v[81:82], v19 offset:8192
	v_and_b32_e32 v18, 0x1f0, v18
	v_add_u32_e32 v18, s0, v18
	ds_read_b128 v[77:80], v18 offset:1024
	s_waitcnt lgkmcnt(2)
	v_mul_f64 v[109:110], v[99:100], v[89:90]
	v_fma_f64 v[18:19], v[22:23], v[38:39], v[14:15]
	v_mul_f64 v[22:23], v[12:13], v[95:96]
	s_waitcnt lgkmcnt(1)
	v_mul_f64 v[89:90], v[81:82], v[89:90]
	v_fma_f64 v[20:21], v[42:43], v[38:39], -v[103:104]
	v_add_f64 v[38:39], v[107:108], -v[73:74]
	v_fma_f64 v[73:74], v[16:17], v[75:76], v[111:112]
	v_mul_lo_u32 v17, v61, v65
	v_lshrrev_b32_e32 v13, 1, v64
	v_fma_f64 v[42:43], v[81:82], v[87:88], -v[109:110]
	v_fma_f64 v[81:82], v[101:102], v[83:84], -v[85:86]
	v_and_b32_e32 v12, 31, v64
	v_and_b32_e32 v13, 0x1f0, v13
	v_fma_f64 v[83:84], v[24:25], v[93:94], -v[22:23]
	v_and_b32_e32 v22, 31, v17
	ds_read_b64 v[113:114], v44
	v_fma_f64 v[44:45], v[99:100], v[87:88], v[89:90]
	v_lshl_add_u32 v12, v12, 4, 0
	v_add_u32_e32 v13, s0, v13
	v_lshl_add_u32 v89, v22, 4, 0
	ds_read_b64 v[75:76], v12 offset:8192
	ds_read_b128 v[12:15], v13 offset:512
	ds_read_b128 v[22:25], v89 offset:8192
	ds_read_b64 v[101:102], v115 offset:8200
	s_waitcnt lgkmcnt(5)
	v_mul_f64 v[87:88], v[42:43], v[79:80]
	v_mul_f64 v[79:80], v[44:45], v[79:80]
	s_waitcnt lgkmcnt(2)
	v_mul_f64 v[85:86], v[75:76], v[14:15]
	s_waitcnt lgkmcnt(1)
	v_mul_f64 v[14:15], v[24:25], v[14:15]
	v_lshrrev_b32_e32 v64, 6, v64
	v_and_b32_e32 v64, 0x1f0, v64
	v_add_u32_e32 v64, s0, v64
	v_add_f64 v[103:104], v[91:92], -v[105:106]
	ds_read_b64 v[89:90], v89 offset:8200
	v_add_f64 v[93:94], v[40:41], -v[73:74]
	v_fma_f64 v[24:25], v[24:25], v[12:13], v[85:86]
	v_fma_f64 v[85:86], v[75:76], v[12:13], -v[14:15]
	ds_read_b128 v[12:15], v64 offset:1024
	v_fma_f64 v[109:110], v[77:78], v[42:43], -v[79:80]
	v_lshrrev_b32_e32 v42, 6, v66
	v_and_b32_e32 v42, 0x1f0, v42
	v_lshrrev_b32_e32 v43, 1, v66
	v_add_u32_e32 v42, s0, v42
	v_and_b32_e32 v43, 0x1f0, v43
	v_fma_f64 v[87:88], v[77:78], v[44:45], v[87:88]
	v_add_u32_e32 v64, s0, v43
	ds_read_b128 v[42:45], v42 offset:1024
	ds_read_b128 v[73:76], v64 offset:512
	s_waitcnt lgkmcnt(2)
	v_mul_f64 v[105:106], v[24:25], v[14:15]
	v_mul_f64 v[14:15], v[85:86], v[14:15]
	v_add_f64 v[99:100], v[103:104], -v[38:39]
	v_fma_f64 v[111:112], v[40:41], 2.0, -v[93:94]
	v_fma_f64 v[38:39], v[107:108], 2.0, -v[38:39]
	s_waitcnt lgkmcnt(0)
	v_mul_f64 v[40:41], v[101:102], v[75:76]
	v_add_f64 v[83:84], v[81:82], -v[83:84]
	v_mul_f64 v[75:76], v[97:98], v[75:76]
	v_fma_f64 v[91:92], v[91:92], 2.0, -v[103:104]
	v_fma_f64 v[14:15], v[12:13], v[24:25], v[14:15]
	v_lshrrev_b32_e32 v24, 1, v17
	v_and_b32_e32 v24, 0x1f0, v24
	v_add_u32_e32 v24, s0, v24
	v_add_f64 v[115:116], v[111:112], -v[38:39]
	v_fma_f64 v[97:98], v[97:98], v[73:74], -v[40:41]
	ds_read_b128 v[38:41], v24 offset:512
	v_fma_f64 v[77:78], v[81:82], 2.0, -v[83:84]
	v_lshrrev_b32_e32 v17, 6, v17
	v_and_b32_e32 v17, 0x1f0, v17
	v_add_u32_e32 v17, s0, v17
	v_fma_f64 v[101:102], v[101:102], v[73:74], v[75:76]
	ds_read_b128 v[73:76], v17 offset:1024
	s_waitcnt lgkmcnt(1)
	v_mul_f64 v[24:25], v[22:23], v[40:41]
	v_mul_f64 v[40:41], v[89:90], v[40:41]
	v_add_f64 v[95:96], v[93:94], v[83:84]
	v_add_f64 v[107:108], v[91:92], -v[77:78]
	v_and_b32_e32 v16, 15, v71
	v_fma_f64 v[85:86], v[12:13], v[85:86], -v[105:106]
	v_mul_f64 v[105:106], v[115:116], v[14:15]
	v_or_b32_e32 v17, 48, v16
	v_fma_f64 v[89:90], v[89:90], v[38:39], v[24:25]
	v_fma_f64 v[123:124], v[22:23], v[38:39], -v[40:41]
	v_mul_f64 v[117:118], v[95:96], v[87:88]
	v_mul_f64 v[38:39], v[97:98], v[44:45]
	;; [unrolled: 1-line block ×4, first 2 shown]
	v_mul_lo_u32 v17, v17, v65
	v_mul_f64 v[121:122], v[101:102], v[44:45]
	s_waitcnt lgkmcnt(0)
	v_mul_f64 v[44:45], v[89:90], v[75:76]
	v_mul_f64 v[75:76], v[123:124], v[75:76]
	v_fma_f64 v[14:15], v[99:100], v[109:110], -v[117:118]
	v_fma_f64 v[99:100], v[103:104], 2.0, -v[99:100]
	v_fma_f64 v[103:104], v[93:94], 2.0, -v[95:96]
	v_fma_f64 v[93:94], v[42:43], v[101:102], v[38:39]
	v_lshrrev_b32_e32 v38, 1, v17
	v_sub_u32_e32 v64, v17, v63
	v_mul_u32_u24_e32 v62, 3, v16
	v_and_b32_e32 v38, 0x1f0, v38
	v_sub_u32_e32 v66, v64, v63
	v_lshlrev_b32_e32 v62, 4, v62
	v_add_u32_e32 v38, s0, v38
	v_and_b32_e32 v39, 31, v66
	global_load_dwordx4 v[77:80], v62, s[14:15] offset:144
	global_load_dwordx4 v[81:84], v62, s[14:15] offset:128
	v_fma_f64 v[12:13], v[95:96], v[109:110], v[87:88]
	v_fma_f64 v[24:25], v[107:108], v[85:86], -v[105:106]
	v_fma_f64 v[22:23], v[115:116], v[85:86], v[119:120]
	v_lshl_add_u32 v125, v39, 4, 0
	ds_read_b128 v[38:41], v38 offset:512
	ds_read_b128 v[85:88], v125 offset:8192
	v_fma_f64 v[75:76], v[73:74], v[89:90], v[75:76]
	v_and_b32_e32 v89, 31, v17
	v_fma_f64 v[101:102], v[111:112], 2.0, -v[115:116]
	v_lshl_add_u32 v95, v89, 4, 0
	s_waitcnt lgkmcnt(0)
	v_mul_f64 v[89:90], v[87:88], v[40:41]
	v_fma_f64 v[105:106], v[91:92], 2.0, -v[107:108]
	ds_read_b64 v[95:96], v95 offset:8192
	v_fma_f64 v[42:43], v[42:43], v[97:98], -v[121:122]
	v_fma_f64 v[97:98], v[73:74], v[123:124], -v[44:45]
	v_mul_lo_u32 v123, v16, v65
	v_lshrrev_b32_e32 v73, 1, v64
	v_and_b32_e32 v73, 0x1f0, v73
	v_add_u32_e32 v73, s0, v73
	v_mul_f64 v[111:112], v[101:102], v[75:76]
	v_mul_f64 v[115:116], v[105:106], v[75:76]
	ds_read_b128 v[73:76], v73 offset:512
	s_waitcnt lgkmcnt(1)
	v_fma_f64 v[109:110], v[95:96], v[38:39], -v[89:90]
	v_and_b32_e32 v89, 31, v123
	v_mul_f64 v[44:45], v[103:104], v[93:94]
	v_mul_f64 v[107:108], v[99:100], v[93:94]
	v_lshl_add_u32 v93, v89, 4, 0
	ds_read_b128 v[89:92], v93 offset:8192
	ds_read_b64 v[117:118], v93 offset:8200
	v_and_b32_e32 v93, 31, v64
	v_lshl_add_u32 v93, v93, 4, 0
	v_mul_f64 v[40:41], v[95:96], v[40:41]
	ds_read_b64 v[119:120], v93 offset:8192
	global_load_dwordx4 v[93:96], v62, s[14:15] offset:160
	s_waitcnt lgkmcnt(2)
	v_mul_f64 v[121:122], v[91:92], v[75:76]
	v_lshrrev_b32_e32 v62, 6, v64
	v_lshrrev_b32_e32 v64, 1, v66
	v_and_b32_e32 v64, 0x1f0, v64
	v_and_b32_e32 v62, 0x1f0, v62
	v_fma_f64 v[87:88], v[87:88], v[38:39], v[40:41]
	v_fma_f64 v[40:41], v[99:100], v[42:43], -v[44:45]
	v_fma_f64 v[38:39], v[103:104], v[42:43], v[107:108]
	v_fma_f64 v[44:45], v[105:106], v[97:98], -v[111:112]
	v_fma_f64 v[42:43], v[101:102], v[97:98], v[115:116]
	s_waitcnt lgkmcnt(0)
	v_mul_f64 v[75:76], v[119:120], v[75:76]
	v_add_u32_e32 v64, s0, v64
	v_add_u32_e32 v62, s0, v62
	ds_read_b64 v[115:116], v125 offset:8200
	ds_read_b128 v[97:100], v62 offset:1024
	ds_read_b128 v[101:104], v64 offset:512
	v_fma_f64 v[111:112], v[119:120], v[73:74], -v[121:122]
	v_lshrrev_b32_e32 v17, 6, v17
	v_and_b32_e32 v17, 0x1f0, v17
	v_add_u32_e32 v17, s0, v17
	s_waitcnt lgkmcnt(0)
	v_mul_f64 v[119:120], v[115:116], v[103:104]
	v_fma_f64 v[91:92], v[91:92], v[73:74], v[75:76]
	ds_read_b128 v[73:76], v17 offset:1024
	v_mul_f64 v[103:104], v[85:86], v[103:104]
	v_lshrrev_b32_e32 v62, 6, v66
	v_lshrrev_b32_e32 v17, 1, v123
	v_and_b32_e32 v62, 0x1f0, v62
	v_and_b32_e32 v17, 0x1f0, v17
	v_fma_f64 v[119:120], v[85:86], v[101:102], -v[119:120]
	s_waitcnt lgkmcnt(0)
	v_mul_f64 v[85:86], v[109:110], v[75:76]
	v_mul_f64 v[75:76], v[87:88], v[75:76]
	v_fma_f64 v[101:102], v[115:116], v[101:102], v[103:104]
	v_mul_f64 v[103:104], v[91:92], v[99:100]
	v_mul_f64 v[99:100], v[111:112], v[99:100]
	v_add_u32_e32 v62, s0, v62
	v_add_u32_e32 v17, s0, v17
	ds_read_b128 v[105:108], v62 offset:1024
	v_fma_f64 v[115:116], v[73:74], v[87:88], v[85:86]
	v_fma_f64 v[109:110], v[73:74], v[109:110], -v[75:76]
	ds_read_b128 v[73:76], v17 offset:512
	v_fma_f64 v[111:112], v[97:98], v[111:112], -v[103:104]
	v_fma_f64 v[121:122], v[97:98], v[91:92], v[99:100]
	s_waitcnt lgkmcnt(1)
	v_mul_f64 v[91:92], v[101:102], v[107:108]
	v_mul_f64 v[97:98], v[119:120], v[107:108]
	s_waitcnt lgkmcnt(0)
	v_mul_f64 v[99:100], v[117:118], v[75:76]
	v_lshrrev_b32_e32 v17, 6, v123
	v_and_b32_e32 v17, 0x1f0, v17
	v_add_u32_e32 v17, s0, v17
	ds_read_b128 v[85:88], v17 offset:1024
	v_mul_u32_u24_e32 v17, 3, v68
	v_lshlrev_b32_e32 v17, 4, v17
	v_fma_f64 v[107:108], v[105:106], v[119:120], -v[91:92]
	v_fma_f64 v[105:106], v[105:106], v[101:102], v[97:98]
	v_mul_f64 v[75:76], v[89:90], v[75:76]
	v_fma_f64 v[119:120], v[89:90], v[73:74], -v[99:100]
	global_load_dwordx4 v[89:92], v17, s[14:15] offset:144
	global_load_dwordx4 v[97:100], v17, s[14:15] offset:128
	s_waitcnt vmcnt(4)
	v_mul_f64 v[103:104], v[10:11], v[79:80]
	v_mul_f64 v[79:80], v[54:55], v[79:80]
	v_or_b32_e32 v66, 32, v68
	v_fma_f64 v[117:118], v[117:118], v[73:74], v[75:76]
	ds_read2st64_b64 v[73:76], v59 offset1:5
	ds_read_b64 v[59:60], v60
	v_fma_f64 v[54:55], v[54:55], v[77:78], -v[103:104]
	v_fma_f64 v[10:11], v[10:11], v[77:78], v[79:80]
	s_waitcnt vmcnt(3)
	v_mul_f64 v[79:80], v[2:3], v[83:84]
	s_waitcnt lgkmcnt(1)
	v_mul_f64 v[77:78], v[75:76], v[83:84]
	global_load_dwordx4 v[101:104], v17, s[14:15] offset:160
	v_mul_lo_u32 v17, v72, v65
	v_add_f64 v[54:55], v[113:114], -v[54:55]
	v_add_f64 v[10:11], v[50:51], -v[10:11]
	v_fma_f64 v[75:76], v[75:76], v[81:82], -v[79:80]
	v_fma_f64 v[2:3], v[2:3], v[81:82], v[77:78]
	v_fma_f64 v[83:84], v[113:114], 2.0, -v[54:55]
	s_waitcnt vmcnt(3)
	v_mul_f64 v[77:78], v[48:49], v[95:96]
	v_mul_f64 v[79:80], v[6:7], v[95:96]
	v_fma_f64 v[6:7], v[6:7], v[93:94], v[77:78]
	v_fma_f64 v[48:49], v[48:49], v[93:94], -v[79:80]
	v_fma_f64 v[93:94], v[50:51], 2.0, -v[10:11]
	v_add_f64 v[6:7], v[2:3], -v[6:7]
	v_add_f64 v[48:49], v[75:76], -v[48:49]
	v_add_f64 v[79:80], v[54:55], -v[6:7]
	v_add_f64 v[81:82], v[10:11], v[48:49]
	v_fma_f64 v[2:3], v[2:3], 2.0, -v[6:7]
	v_fma_f64 v[6:7], v[75:76], 2.0, -v[48:49]
	v_mul_f64 v[75:76], v[79:80], v[115:116]
	v_mul_f64 v[48:49], v[81:82], v[115:116]
	v_add_f64 v[2:3], v[93:94], -v[2:3]
	v_add_f64 v[6:7], v[83:84], -v[6:7]
	v_fma_f64 v[10:11], v[10:11], 2.0, -v[81:82]
	v_fma_f64 v[50:51], v[79:80], v[109:110], -v[48:49]
	v_fma_f64 v[48:49], v[81:82], v[109:110], v[75:76]
	v_mul_f64 v[75:76], v[2:3], v[121:122]
	v_mul_f64 v[95:96], v[6:7], v[121:122]
	v_fma_f64 v[109:110], v[83:84], 2.0, -v[6:7]
	v_mul_f64 v[81:82], v[117:118], v[87:88]
	v_mul_f64 v[87:88], v[119:120], v[87:88]
	v_mul_lo_u32 v121, v66, v65
	v_fma_f64 v[77:78], v[6:7], v[111:112], -v[75:76]
	v_fma_f64 v[75:76], v[2:3], v[111:112], v[95:96]
	v_fma_f64 v[95:96], v[54:55], 2.0, -v[79:80]
	s_waitcnt vmcnt(2)
	v_mul_f64 v[54:55], v[8:9], v[91:92]
	v_lshrrev_b32_e32 v6, 6, v17
	v_and_b32_e32 v62, 0x1f0, v6
	v_and_b32_e32 v6, 31, v17
	v_fma_f64 v[87:88], v[85:86], v[117:118], v[87:88]
	v_lshrrev_b32_e32 v17, 1, v17
	v_and_b32_e32 v17, 0x1f0, v17
	v_add_u32_e32 v17, s0, v17
	v_fma_f64 v[115:116], v[52:53], v[89:90], -v[54:55]
	v_lshl_add_u32 v54, v6, 4, 0
	v_mul_f64 v[6:7], v[52:53], v[91:92]
	ds_read_b128 v[52:55], v54 offset:8192
	s_waitcnt vmcnt(1) lgkmcnt(1)
	v_mul_f64 v[79:80], v[59:60], v[99:100]
	v_fma_f64 v[113:114], v[85:86], v[119:120], -v[81:82]
	v_fma_f64 v[91:92], v[93:94], 2.0, -v[2:3]
	s_waitcnt vmcnt(0)
	v_mul_f64 v[2:3], v[4:5], v[103:104]
	v_mul_f64 v[111:112], v[10:11], v[105:106]
	;; [unrolled: 1-line block ×3, first 2 shown]
	v_fma_f64 v[89:90], v[8:9], v[89:90], v[6:7]
	v_lshrrev_b32_e32 v6, 6, v121
	v_fma_f64 v[117:118], v[56:57], v[97:98], v[79:80]
	v_mul_f64 v[56:57], v[56:57], v[99:100]
	v_and_b32_e32 v6, 0x1f0, v6
	v_add_u32_e32 v64, s0, v6
	ds_read_b128 v[6:9], v17 offset:512
	ds_read_b128 v[79:82], v64 offset:1024
	v_fma_f64 v[2:3], v[46:47], v[101:102], -v[2:3]
	v_add_u32_e32 v17, s0, v62
	ds_read_b128 v[83:86], v17 offset:1024
	v_mul_lo_u32 v17, v68, v65
	v_fma_f64 v[56:57], v[59:60], v[97:98], -v[56:57]
	s_waitcnt lgkmcnt(2)
	v_mul_f64 v[59:60], v[52:53], v[8:9]
	v_mul_f64 v[8:9], v[54:55], v[8:9]
	v_fma_f64 v[93:94], v[4:5], v[101:102], v[119:120]
	v_fma_f64 v[4:5], v[95:96], v[107:108], -v[111:112]
	v_mul_f64 v[95:96], v[95:96], v[105:106]
	v_add_f64 v[105:106], v[0:1], -v[89:90]
	v_mul_f64 v[97:98], v[91:92], v[87:88]
	v_add_f64 v[89:90], v[56:57], -v[2:3]
	v_fma_f64 v[59:60], v[54:55], v[6:7], v[59:60]
	v_fma_f64 v[46:47], v[52:53], v[6:7], -v[8:9]
	v_lshrrev_b32_e32 v7, 1, v121
	v_and_b32_e32 v6, 31, v121
	v_and_b32_e32 v7, 0x1f0, v7
	;; [unrolled: 1-line block ×3, first 2 shown]
	v_lshl_add_u32 v6, v6, 4, 0
	v_add_u32_e32 v7, s0, v7
	v_lshl_add_u32 v62, v52, 4, 0
	s_waitcnt lgkmcnt(0)
	v_mul_f64 v[2:3], v[46:47], v[85:86]
	ds_read_b64 v[64:65], v6 offset:8192
	ds_read_b128 v[6:9], v7 offset:512
	ds_read_b128 v[52:55], v62 offset:8192
	v_mul_f64 v[99:100], v[109:110], v[87:88]
	v_add_f64 v[103:104], v[117:118], -v[93:94]
	v_mul_f64 v[93:94], v[59:60], v[85:86]
	v_fma_f64 v[87:88], v[109:110], v[113:114], -v[97:98]
	s_waitcnt lgkmcnt(1)
	v_mul_f64 v[97:98], v[64:65], v[8:9]
	v_fma_f64 v[59:60], v[83:84], v[59:60], v[2:3]
	v_fma_f64 v[2:3], v[10:11], v[107:108], v[95:96]
	ds_read_b64 v[107:108], v62 offset:8200
	s_waitcnt lgkmcnt(1)
	v_mul_f64 v[10:11], v[54:55], v[8:9]
	v_fma_f64 v[85:86], v[91:92], v[113:114], v[99:100]
	v_fma_f64 v[113:114], v[56:57], 2.0, -v[89:90]
	v_sub_u32_e32 v56, v121, v63
	v_lshrrev_b32_e32 v8, 6, v56
	v_and_b32_e32 v9, 31, v56
	v_lshrrev_b32_e32 v56, 1, v56
	v_and_b32_e32 v8, 0x1f0, v8
	v_and_b32_e32 v56, 0x1f0, v56
	v_add_u32_e32 v8, s0, v8
	v_add_u32_e32 v56, s0, v56
	v_add_f64 v[101:102], v[73:74], -v[115:116]
	v_add_f64 v[111:112], v[105:106], v[89:90]
	v_fma_f64 v[115:116], v[64:65], v[6:7], -v[10:11]
	v_lshl_add_u32 v57, v9, 4, 0
	ds_read_b128 v[8:11], v8 offset:1024
	ds_read_b128 v[62:65], v57 offset:8192
	;; [unrolled: 1-line block ×3, first 2 shown]
	v_lshrrev_b32_e32 v56, 6, v17
	v_lshrrev_b32_e32 v17, 1, v17
	v_and_b32_e32 v56, 0x1f0, v56
	v_and_b32_e32 v17, 0x1f0, v17
	s_waitcnt lgkmcnt(0)
	v_mul_f64 v[119:120], v[64:65], v[91:92]
	v_add_u32_e32 v56, s0, v56
	v_add_u32_e32 v17, s0, v17
	v_fma_f64 v[46:47], v[83:84], v[46:47], -v[93:94]
	ds_read_b128 v[93:96], v56 offset:1024
	v_fma_f64 v[6:7], v[54:55], v[6:7], v[97:98]
	ds_read_b128 v[97:100], v17 offset:512
	v_add_f64 v[109:110], v[101:102], -v[103:104]
	v_mul_f64 v[83:84], v[111:112], v[59:60]
	v_mul_f64 v[54:55], v[62:63], v[91:92]
	v_fma_f64 v[62:63], v[62:63], v[89:90], -v[119:120]
	s_waitcnt lgkmcnt(0)
	v_mul_f64 v[91:92], v[107:108], v[99:100]
	v_fma_f64 v[73:74], v[73:74], 2.0, -v[101:102]
	v_fma_f64 v[0:1], v[0:1], 2.0, -v[105:106]
	v_mul_f64 v[99:100], v[52:53], v[99:100]
	v_mul_f64 v[59:60], v[109:110], v[59:60]
	v_fma_f64 v[56:57], v[109:110], v[46:47], -v[83:84]
	v_fma_f64 v[83:84], v[117:118], 2.0, -v[103:104]
	v_mul_f64 v[103:104], v[115:116], v[81:82]
	v_fma_f64 v[54:55], v[64:65], v[89:90], v[54:55]
	v_mul_f64 v[89:90], v[62:63], v[10:11]
	v_mul_f64 v[81:82], v[6:7], v[81:82]
	v_fma_f64 v[52:53], v[52:53], v[97:98], -v[91:92]
	v_add_f64 v[64:65], v[73:74], -v[113:114]
	v_fma_f64 v[91:92], v[105:106], 2.0, -v[111:112]
	v_add_f64 v[83:84], v[0:1], -v[83:84]
	v_fma_f64 v[6:7], v[79:80], v[6:7], v[103:104]
	v_mul_f64 v[10:11], v[54:55], v[10:11]
	v_fma_f64 v[54:55], v[8:9], v[54:55], v[89:90]
	v_fma_f64 v[89:90], v[101:102], 2.0, -v[109:110]
	v_fma_f64 v[97:98], v[107:108], v[97:98], v[99:100]
	v_fma_f64 v[79:80], v[79:80], v[115:116], -v[81:82]
	v_mul_f64 v[81:82], v[52:53], v[95:96]
	v_fma_f64 v[0:1], v[0:1], 2.0, -v[83:84]
	v_mul_f64 v[99:100], v[83:84], v[6:7]
	v_mul_f64 v[6:7], v[64:65], v[6:7]
	v_fma_f64 v[10:11], v[8:9], v[62:63], -v[10:11]
	v_mul_f64 v[62:63], v[91:92], v[54:55]
	v_mul_f64 v[101:102], v[89:90], v[54:55]
	;; [unrolled: 1-line block ×3, first 2 shown]
	v_fma_f64 v[81:82], v[93:94], v[97:98], v[81:82]
	v_fma_f64 v[54:55], v[111:112], v[46:47], v[59:60]
	v_fma_f64 v[46:47], v[73:74], 2.0, -v[64:65]
	v_mad_u64_u32 v[59:60], s[0:1], s4, v69, 0
	v_fma_f64 v[8:9], v[64:65], v[79:80], -v[99:100]
	v_fma_f64 v[6:7], v[83:84], v[79:80], v[6:7]
	v_fma_f64 v[64:65], v[89:90], v[10:11], -v[62:63]
	v_fma_f64 v[62:63], v[91:92], v[10:11], v[101:102]
	v_fma_f64 v[10:11], v[93:94], v[52:53], -v[95:96]
	v_mul_f64 v[52:53], v[0:1], v[81:82]
	v_mad_u64_u32 v[83:84], s[0:1], s2, v68, 0
	v_mul_f64 v[73:74], v[46:47], v[81:82]
	v_mov_b32_e32 v17, v60
	v_mad_u64_u32 v[89:90], s[0:1], s5, v69, v[17:18]
	v_mov_b32_e32 v17, v84
	v_mad_u64_u32 v[90:91], s[0:1], s3, v68, v[17:18]
	s_lshl_b64 s[0:1], s[6:7], 4
	s_add_u32 s4, s12, s0
	v_fma_f64 v[81:82], v[46:47], v[10:11], -v[52:53]
	s_addc_u32 s0, s13, s1
	v_or_b32_e32 v46, 16, v68
	v_fma_f64 v[79:80], v[0:1], v[10:11], v[73:74]
	v_mov_b32_e32 v17, s0
	v_mad_u64_u32 v[10:11], s[0:1], s2, v46, 0
	v_mov_b32_e32 v60, v89
	v_lshlrev_b64 v[0:1], 4, v[59:60]
	v_mov_b32_e32 v84, v90
	v_add_co_u32_e32 v59, vcc, s4, v0
	v_mad_u64_u32 v[46:47], s[0:1], s3, v46, v[11:12]
	v_addc_co_u32_e32 v17, vcc, v17, v1, vcc
	v_lshlrev_b64 v[0:1], 4, v[83:84]
	v_mov_b32_e32 v11, v46
	v_add_co_u32_e32 v0, vcc, v59, v0
	v_addc_co_u32_e32 v1, vcc, v17, v1, vcc
	global_store_dwordx4 v[0:1], v[79:82], off
	v_lshlrev_b64 v[0:1], 4, v[10:11]
	v_mad_u64_u32 v[10:11], s[0:1], s2, v66, 0
	v_mad_u64_u32 v[52:53], s[0:1], s2, v72, 0
	;; [unrolled: 1-line block ×3, first 2 shown]
	v_add_co_u32_e32 v0, vcc, v59, v0
	v_addc_co_u32_e32 v1, vcc, v17, v1, vcc
	v_mov_b32_e32 v11, v46
	global_store_dwordx4 v[0:1], v[62:65], off
	v_lshlrev_b64 v[0:1], 4, v[10:11]
	v_mov_b32_e32 v10, v53
	v_mad_u64_u32 v[10:11], s[0:1], s3, v72, v[10:11]
	v_add_co_u32_e32 v0, vcc, v59, v0
	v_addc_co_u32_e32 v1, vcc, v17, v1, vcc
	global_store_dwordx4 v[0:1], v[6:9], off
	s_movk_i32 s4, 0x1c0
	v_lshlrev_b32_e32 v6, 2, v71
	v_mov_b32_e32 v53, v10
	v_and_or_b32 v10, v6, s4, v16
	v_mad_u64_u32 v[6:7], s[0:1], s2, v10, 0
	v_or_b32_e32 v11, 16, v10
	v_lshlrev_b64 v[0:1], 4, v[52:53]
	v_mad_u64_u32 v[7:8], s[0:1], s3, v10, v[7:8]
	v_mad_u64_u32 v[8:9], s[0:1], s2, v11, 0
	v_add_co_u32_e32 v0, vcc, v59, v0
	v_addc_co_u32_e32 v1, vcc, v17, v1, vcc
	global_store_dwordx4 v[0:1], v[54:57], off
	v_lshlrev_b64 v[0:1], 4, v[6:7]
	v_mov_b32_e32 v6, v9
	v_mad_u64_u32 v[6:7], s[0:1], s3, v11, v[6:7]
	v_add_co_u32_e32 v0, vcc, v59, v0
	v_addc_co_u32_e32 v1, vcc, v17, v1, vcc
	v_mov_b32_e32 v9, v6
	global_store_dwordx4 v[0:1], v[85:88], off
	v_lshlrev_b64 v[0:1], 4, v[8:9]
	v_or_b32_e32 v8, 32, v10
	v_mad_u64_u32 v[6:7], s[0:1], s2, v8, 0
	v_or_b32_e32 v10, 48, v10
	v_add_co_u32_e32 v0, vcc, v59, v0
	v_mad_u64_u32 v[7:8], s[0:1], s3, v8, v[7:8]
	v_mad_u64_u32 v[8:9], s[0:1], s2, v10, 0
	v_addc_co_u32_e32 v1, vcc, v17, v1, vcc
	global_store_dwordx4 v[0:1], v[2:5], off
	v_lshlrev_b64 v[0:1], 4, v[6:7]
	v_mov_b32_e32 v2, v9
	v_mad_u64_u32 v[2:3], s[0:1], s3, v10, v[2:3]
	v_add_co_u32_e32 v0, vcc, v59, v0
	v_mov_b32_e32 v9, v2
	v_lshlrev_b32_e32 v2, 2, v67
	v_and_or_b32 v6, v2, s4, v61
	v_mad_u64_u32 v[2:3], s[0:1], s2, v6, 0
	v_addc_co_u32_e32 v1, vcc, v17, v1, vcc
	v_mad_u64_u32 v[3:4], s[0:1], s3, v6, v[3:4]
	v_or_b32_e32 v7, 16, v6
	global_store_dwordx4 v[0:1], v[75:78], off
	v_lshlrev_b64 v[0:1], 4, v[8:9]
	v_mad_u64_u32 v[4:5], s[0:1], s2, v7, 0
	v_add_co_u32_e32 v0, vcc, v59, v0
	v_addc_co_u32_e32 v1, vcc, v17, v1, vcc
	global_store_dwordx4 v[0:1], v[48:51], off
	v_lshlrev_b64 v[0:1], 4, v[2:3]
	v_mov_b32_e32 v2, v5
	v_mad_u64_u32 v[2:3], s[0:1], s3, v7, v[2:3]
	v_add_co_u32_e32 v0, vcc, v59, v0
	v_addc_co_u32_e32 v1, vcc, v17, v1, vcc
	v_mov_b32_e32 v5, v2
	global_store_dwordx4 v[0:1], v[42:45], off
	v_lshlrev_b64 v[0:1], 4, v[4:5]
	v_or_b32_e32 v4, 32, v6
	v_mad_u64_u32 v[2:3], s[0:1], s2, v4, 0
	v_or_b32_e32 v6, 48, v6
	v_add_co_u32_e32 v0, vcc, v59, v0
	v_mad_u64_u32 v[3:4], s[0:1], s3, v4, v[3:4]
	v_mad_u64_u32 v[4:5], s[0:1], s2, v6, 0
	v_addc_co_u32_e32 v1, vcc, v17, v1, vcc
	global_store_dwordx4 v[0:1], v[38:41], off
	v_lshlrev_b64 v[0:1], 4, v[2:3]
	v_mov_b32_e32 v2, v5
	v_mad_u64_u32 v[2:3], s[0:1], s3, v6, v[2:3]
	v_add_co_u32_e32 v0, vcc, v59, v0
	v_mov_b32_e32 v5, v2
	v_lshlrev_b32_e32 v2, 2, v70
	v_and_or_b32 v6, v2, s4, v58
	v_mad_u64_u32 v[2:3], s[0:1], s2, v6, 0
	v_addc_co_u32_e32 v1, vcc, v17, v1, vcc
	global_store_dwordx4 v[0:1], v[22:25], off
	v_lshlrev_b64 v[0:1], 4, v[4:5]
	v_mad_u64_u32 v[3:4], s[0:1], s3, v6, v[3:4]
	v_or_b32_e32 v7, 16, v6
	v_mad_u64_u32 v[4:5], s[0:1], s2, v7, 0
	v_add_co_u32_e32 v0, vcc, v59, v0
	v_addc_co_u32_e32 v1, vcc, v17, v1, vcc
	global_store_dwordx4 v[0:1], v[12:15], off
	v_lshlrev_b64 v[0:1], 4, v[2:3]
	v_mov_b32_e32 v2, v5
	v_mad_u64_u32 v[2:3], s[0:1], s3, v7, v[2:3]
	v_add_co_u32_e32 v0, vcc, v59, v0
	v_addc_co_u32_e32 v1, vcc, v17, v1, vcc
	v_mov_b32_e32 v5, v2
	global_store_dwordx4 v[0:1], v[18:21], off
	v_lshlrev_b64 v[0:1], 4, v[4:5]
	v_or_b32_e32 v4, 32, v6
	v_mad_u64_u32 v[2:3], s[0:1], s2, v4, 0
	v_or_b32_e32 v6, 48, v6
	v_add_co_u32_e32 v0, vcc, v59, v0
	v_mad_u64_u32 v[3:4], s[0:1], s3, v4, v[3:4]
	v_mad_u64_u32 v[4:5], s[0:1], s2, v6, 0
	v_addc_co_u32_e32 v1, vcc, v17, v1, vcc
	global_store_dwordx4 v[0:1], v[34:37], off
	v_lshlrev_b64 v[0:1], 4, v[2:3]
	v_mov_b32_e32 v2, v5
	v_mad_u64_u32 v[2:3], s[0:1], s3, v6, v[2:3]
	v_add_co_u32_e32 v0, vcc, v59, v0
	v_addc_co_u32_e32 v1, vcc, v17, v1, vcc
	v_mov_b32_e32 v5, v2
	global_store_dwordx4 v[0:1], v[30:33], off
	v_lshlrev_b64 v[0:1], 4, v[4:5]
	v_add_co_u32_e32 v0, vcc, v59, v0
	v_addc_co_u32_e32 v1, vcc, v17, v1, vcc
	global_store_dwordx4 v[0:1], v[26:29], off
.LBB0_15:
	s_endpgm
	.section	.rodata,"a",@progbits
	.p2align	6, 0x0
	.amdhsa_kernel fft_rtc_back_len64_factors_8_2_4_wgs_64_tpt_4_halfLds_dim2_dp_ip_CI_sbcc_twdbase5_3step_dirReg
		.amdhsa_group_segment_fixed_size 0
		.amdhsa_private_segment_fixed_size 0
		.amdhsa_kernarg_size 88
		.amdhsa_user_sgpr_count 6
		.amdhsa_user_sgpr_private_segment_buffer 1
		.amdhsa_user_sgpr_dispatch_ptr 0
		.amdhsa_user_sgpr_queue_ptr 0
		.amdhsa_user_sgpr_kernarg_segment_ptr 1
		.amdhsa_user_sgpr_dispatch_id 0
		.amdhsa_user_sgpr_flat_scratch_init 0
		.amdhsa_user_sgpr_private_segment_size 0
		.amdhsa_uses_dynamic_stack 0
		.amdhsa_system_sgpr_private_segment_wavefront_offset 0
		.amdhsa_system_sgpr_workgroup_id_x 1
		.amdhsa_system_sgpr_workgroup_id_y 0
		.amdhsa_system_sgpr_workgroup_id_z 0
		.amdhsa_system_sgpr_workgroup_info 0
		.amdhsa_system_vgpr_workitem_id 0
		.amdhsa_next_free_vgpr 126
		.amdhsa_next_free_sgpr 20
		.amdhsa_reserve_vcc 1
		.amdhsa_reserve_flat_scratch 0
		.amdhsa_float_round_mode_32 0
		.amdhsa_float_round_mode_16_64 0
		.amdhsa_float_denorm_mode_32 3
		.amdhsa_float_denorm_mode_16_64 3
		.amdhsa_dx10_clamp 1
		.amdhsa_ieee_mode 1
		.amdhsa_fp16_overflow 0
		.amdhsa_exception_fp_ieee_invalid_op 0
		.amdhsa_exception_fp_denorm_src 0
		.amdhsa_exception_fp_ieee_div_zero 0
		.amdhsa_exception_fp_ieee_overflow 0
		.amdhsa_exception_fp_ieee_underflow 0
		.amdhsa_exception_fp_ieee_inexact 0
		.amdhsa_exception_int_div_zero 0
	.end_amdhsa_kernel
	.text
.Lfunc_end0:
	.size	fft_rtc_back_len64_factors_8_2_4_wgs_64_tpt_4_halfLds_dim2_dp_ip_CI_sbcc_twdbase5_3step_dirReg, .Lfunc_end0-fft_rtc_back_len64_factors_8_2_4_wgs_64_tpt_4_halfLds_dim2_dp_ip_CI_sbcc_twdbase5_3step_dirReg
                                        ; -- End function
	.section	.AMDGPU.csdata,"",@progbits
; Kernel info:
; codeLenInByte = 9660
; NumSgprs: 24
; NumVgprs: 126
; ScratchSize: 0
; MemoryBound: 1
; FloatMode: 240
; IeeeMode: 1
; LDSByteSize: 0 bytes/workgroup (compile time only)
; SGPRBlocks: 2
; VGPRBlocks: 31
; NumSGPRsForWavesPerEU: 24
; NumVGPRsForWavesPerEU: 126
; Occupancy: 2
; WaveLimiterHint : 1
; COMPUTE_PGM_RSRC2:SCRATCH_EN: 0
; COMPUTE_PGM_RSRC2:USER_SGPR: 6
; COMPUTE_PGM_RSRC2:TRAP_HANDLER: 0
; COMPUTE_PGM_RSRC2:TGID_X_EN: 1
; COMPUTE_PGM_RSRC2:TGID_Y_EN: 0
; COMPUTE_PGM_RSRC2:TGID_Z_EN: 0
; COMPUTE_PGM_RSRC2:TIDIG_COMP_CNT: 0
	.type	__hip_cuid_96064082f289eca7,@object ; @__hip_cuid_96064082f289eca7
	.section	.bss,"aw",@nobits
	.globl	__hip_cuid_96064082f289eca7
__hip_cuid_96064082f289eca7:
	.byte	0                               ; 0x0
	.size	__hip_cuid_96064082f289eca7, 1

	.ident	"AMD clang version 19.0.0git (https://github.com/RadeonOpenCompute/llvm-project roc-6.4.0 25133 c7fe45cf4b819c5991fe208aaa96edf142730f1d)"
	.section	".note.GNU-stack","",@progbits
	.addrsig
	.addrsig_sym __hip_cuid_96064082f289eca7
	.amdgpu_metadata
---
amdhsa.kernels:
  - .args:
      - .actual_access:  read_only
        .address_space:  global
        .offset:         0
        .size:           8
        .value_kind:     global_buffer
      - .address_space:  global
        .offset:         8
        .size:           8
        .value_kind:     global_buffer
      - .actual_access:  read_only
        .address_space:  global
        .offset:         16
        .size:           8
        .value_kind:     global_buffer
      - .actual_access:  read_only
        .address_space:  global
        .offset:         24
        .size:           8
        .value_kind:     global_buffer
      - .offset:         32
        .size:           8
        .value_kind:     by_value
      - .actual_access:  read_only
        .address_space:  global
        .offset:         40
        .size:           8
        .value_kind:     global_buffer
      - .actual_access:  read_only
        .address_space:  global
        .offset:         48
        .size:           8
        .value_kind:     global_buffer
      - .offset:         56
        .size:           4
        .value_kind:     by_value
      - .actual_access:  read_only
        .address_space:  global
        .offset:         64
        .size:           8
        .value_kind:     global_buffer
      - .actual_access:  read_only
        .address_space:  global
        .offset:         72
        .size:           8
        .value_kind:     global_buffer
      - .address_space:  global
        .offset:         80
        .size:           8
        .value_kind:     global_buffer
    .group_segment_fixed_size: 0
    .kernarg_segment_align: 8
    .kernarg_segment_size: 88
    .language:       OpenCL C
    .language_version:
      - 2
      - 0
    .max_flat_workgroup_size: 64
    .name:           fft_rtc_back_len64_factors_8_2_4_wgs_64_tpt_4_halfLds_dim2_dp_ip_CI_sbcc_twdbase5_3step_dirReg
    .private_segment_fixed_size: 0
    .sgpr_count:     24
    .sgpr_spill_count: 0
    .symbol:         fft_rtc_back_len64_factors_8_2_4_wgs_64_tpt_4_halfLds_dim2_dp_ip_CI_sbcc_twdbase5_3step_dirReg.kd
    .uniform_work_group_size: 1
    .uses_dynamic_stack: false
    .vgpr_count:     126
    .vgpr_spill_count: 0
    .wavefront_size: 64
amdhsa.target:   amdgcn-amd-amdhsa--gfx906
amdhsa.version:
  - 1
  - 2
...

	.end_amdgpu_metadata
